;; amdgpu-corpus repo=ROCm/rocFFT kind=compiled arch=gfx950 opt=O3
	.text
	.amdgcn_target "amdgcn-amd-amdhsa--gfx950"
	.amdhsa_code_object_version 6
	.protected	bluestein_single_fwd_len1925_dim1_dp_op_CI_CI ; -- Begin function bluestein_single_fwd_len1925_dim1_dp_op_CI_CI
	.globl	bluestein_single_fwd_len1925_dim1_dp_op_CI_CI
	.p2align	8
	.type	bluestein_single_fwd_len1925_dim1_dp_op_CI_CI,@function
bluestein_single_fwd_len1925_dim1_dp_op_CI_CI: ; @bluestein_single_fwd_len1925_dim1_dp_op_CI_CI
; %bb.0:
	s_load_dwordx4 s[4:7], s[0:1], 0x28
	v_mul_u32_u24_e32 v1, 0x4a8, v0
	v_mov_b32_e32 v179, 0
	v_add_u32_sdwa v6, s2, v1 dst_sel:DWORD dst_unused:UNUSED_PAD src0_sel:DWORD src1_sel:WORD_1
	v_mov_b32_e32 v7, v179
	s_waitcnt lgkmcnt(0)
	v_cmp_gt_u64_e32 vcc, s[4:5], v[6:7]
	s_and_saveexec_b64 s[2:3], vcc
	s_cbranch_execz .LBB0_10
; %bb.1:
	s_load_dwordx4 s[8:11], s[0:1], 0x0
	s_load_dwordx4 s[16:19], s[0:1], 0x18
	s_load_dwordx2 s[12:13], s[0:1], 0x38
	v_mov_b32_e32 v2, s6
	v_mov_b32_e32 v3, s7
	;; [unrolled: 1-line block ×3, first 2 shown]
	s_waitcnt lgkmcnt(0)
	s_load_dwordx4 s[0:3], s[16:17], 0x0
	s_load_dwordx4 s[4:7], s[18:19], 0x0
	v_mul_lo_u16_sdwa v1, v1, v4 dst_sel:DWORD dst_unused:UNUSED_PAD src0_sel:WORD_1 src1_sel:DWORD
	v_sub_u16_e32 v178, v0, v1
	v_accvgpr_write_b32 a248, v6
	s_waitcnt lgkmcnt(0)
	v_mad_u64_u32 v[0:1], s[14:15], s2, v6, 0
	v_mov_b32_e32 v4, v1
	v_mad_u64_u32 v[4:5], s[2:3], s3, v6, v[4:5]
	v_mov_b32_e32 v1, v4
	;; [unrolled: 2-line block ×4, first 2 shown]
	v_lshl_add_u64 v[0:1], v[0:1], 4, v[2:3]
	v_lshl_add_u64 v[10:11], v[4:5], 4, v[0:1]
	v_lshlrev_b32_e32 v180, 4, v178
	global_load_dwordx4 v[2:5], v[10:11], off
	global_load_dwordx4 v[12:15], v180, s[8:9]
	v_mov_b32_e32 v18, 0x1130
	v_mov_b32_e32 v181, v179
	v_lshl_add_u64 v[0:1], s[8:9], 0, v[180:181]
	s_mov_b32 s26, 0x37e14327
	s_mov_b32 s28, 0xe976ee23
	;; [unrolled: 1-line block ×14, first 2 shown]
	v_lshl_add_u64 v[204:205], v[178:179], 0, 55
	s_waitcnt vmcnt(0)
	scratch_store_dwordx4 off, v[12:15], off offset:136 ; 16-byte Folded Spill
	v_mul_f64 v[6:7], v[4:5], v[14:15]
	v_fmac_f64_e32 v[6:7], v[2:3], v[12:13]
	v_mul_f64 v[2:3], v[2:3], v[14:15]
	v_fma_f64 v[8:9], v[4:5], v[12:13], -v[2:3]
	v_mad_u64_u32 v[2:3], s[2:3], s0, v18, v[10:11]
	s_movk_i32 s3, 0x1000
	s_mul_i32 s2, s1, 0x1130
	v_add_co_u32_e32 v4, vcc, s3, v0
	v_add_u32_e32 v3, s2, v3
	s_nop 0
	v_addc_co_u32_e32 v5, vcc, 0, v1, vcc
	ds_write_b128 v180, v[6:9]
	global_load_dwordx4 v[6:9], v[2:3], off
	global_load_dwordx4 v[12:15], v[4:5], off offset:304
	s_movk_i32 s3, 0x2000
	s_mulk_i32 s1, 0x9c50
	s_sub_i32 s1, s1, s0
	s_waitcnt vmcnt(0)
	v_mul_f64 v[10:11], v[8:9], v[14:15]
	v_fmac_f64_e32 v[10:11], v[6:7], v[12:13]
	v_mul_f64 v[6:7], v[6:7], v[14:15]
	scratch_store_dwordx4 off, v[12:15], off offset:8 ; 16-byte Folded Spill
	s_nop 1
	v_mad_u64_u32 v[14:15], s[14:15], s0, v18, v[2:3]
	v_add_co_u32_e32 v2, vcc, s3, v0
	v_add_u32_e32 v15, s2, v15
	s_nop 0
	v_addc_co_u32_e32 v3, vcc, 0, v1, vcc
	v_fma_f64 v[12:13], v[8:9], v[12:13], -v[6:7]
	global_load_dwordx4 v[6:9], v[14:15], off
	global_load_dwordx4 v[20:23], v[2:3], off offset:608
	ds_write_b128 v180, v[10:13] offset:4400
	s_movk_i32 s3, 0x3000
	s_waitcnt vmcnt(0)
	v_mul_f64 v[10:11], v[8:9], v[22:23]
	v_fmac_f64_e32 v[10:11], v[6:7], v[20:21]
	v_mul_f64 v[6:7], v[6:7], v[22:23]
	v_fma_f64 v[12:13], v[8:9], v[20:21], -v[6:7]
	ds_write_b128 v180, v[10:13] offset:8800
	v_mad_u64_u32 v[10:11], s[14:15], s0, v18, v[14:15]
	v_add_co_u32_e32 v12, vcc, s3, v0
	v_add_u32_e32 v11, s2, v11
	s_nop 0
	v_addc_co_u32_e32 v13, vcc, 0, v1, vcc
	scratch_store_dwordx4 off, v[20:23], off offset:24 ; 16-byte Folded Spill
	global_load_dwordx4 v[6:9], v[10:11], off
	s_movk_i32 s3, 0x4000
	global_load_dwordx4 v[20:23], v[12:13], off offset:912
	s_waitcnt vmcnt(0)
	v_mul_f64 v[14:15], v[8:9], v[22:23]
	v_fmac_f64_e32 v[14:15], v[6:7], v[20:21]
	v_mul_f64 v[6:7], v[6:7], v[22:23]
	scratch_store_dwordx4 off, v[20:23], off offset:40 ; 16-byte Folded Spill
	v_fma_f64 v[16:17], v[8:9], v[20:21], -v[6:7]
	v_add_co_u32_e32 v6, vcc, s3, v0
	v_mad_u64_u32 v[20:21], s[14:15], s0, v18, v[10:11]
	v_add_u32_e32 v21, s2, v21
	v_addc_co_u32_e32 v7, vcc, 0, v1, vcc
	global_load_dwordx4 v[8:11], v[20:21], off
	global_load_dwordx4 v[22:25], v[6:7], off offset:1216
	ds_write_b128 v180, v[14:17] offset:13200
	s_movk_i32 s3, 0x5000
	s_waitcnt vmcnt(0)
	v_mul_f64 v[14:15], v[10:11], v[24:25]
	v_fmac_f64_e32 v[14:15], v[8:9], v[22:23]
	v_mul_f64 v[8:9], v[8:9], v[24:25]
	v_fma_f64 v[16:17], v[10:11], v[22:23], -v[8:9]
	v_mad_u64_u32 v[8:9], s[14:15], s0, v18, v[20:21]
	v_add_co_u32_e32 v10, vcc, s3, v0
	v_add_u32_e32 v9, s2, v9
	s_nop 0
	v_addc_co_u32_e32 v11, vcc, 0, v1, vcc
	scratch_store_dwordx4 off, v[22:25], off offset:56 ; 16-byte Folded Spill
	ds_write_b128 v180, v[14:17] offset:17600
	global_load_dwordx4 v[14:17], v[8:9], off
	global_load_dwordx4 v[22:25], v[10:11], off offset:1520
	s_movk_i32 s3, 0x6000
	s_waitcnt vmcnt(0)
	v_mul_f64 v[20:21], v[16:17], v[24:25]
	v_fmac_f64_e32 v[20:21], v[14:15], v[22:23]
	v_mul_f64 v[14:15], v[14:15], v[24:25]
	scratch_store_dwordx4 off, v[22:25], off offset:72 ; 16-byte Folded Spill
	s_nop 1
	v_mad_u64_u32 v[24:25], s[14:15], s0, v18, v[8:9]
	v_add_co_u32_e32 v8, vcc, s3, v0
	v_add_u32_e32 v25, s2, v25
	s_nop 0
	v_addc_co_u32_e32 v9, vcc, 0, v1, vcc
	v_fma_f64 v[22:23], v[16:17], v[22:23], -v[14:15]
	global_load_dwordx4 v[14:17], v[24:25], off
	global_load_dwordx4 v[26:29], v[8:9], off offset:1824
	ds_write_b128 v180, v[20:23] offset:22000
	s_movk_i32 s3, 0x7000
	s_waitcnt vmcnt(0)
	v_mul_f64 v[20:21], v[16:17], v[28:29]
	v_fmac_f64_e32 v[20:21], v[14:15], v[26:27]
	v_mul_f64 v[14:15], v[14:15], v[28:29]
	v_fma_f64 v[22:23], v[16:17], v[26:27], -v[14:15]
	v_mov_b32_e32 v16, 0xffff9c50
	v_mad_u64_u32 v[14:15], s[14:15], s0, v16, v[24:25]
	scratch_store_dwordx4 off, v[26:29], off offset:88 ; 16-byte Folded Spill
	ds_write_b128 v180, v[20:23] offset:26400
	v_add_u32_e32 v15, s1, v15
	global_load_dwordx4 v[20:23], v[14:15], off
	global_load_dwordx4 v[26:29], v180, s[8:9] offset:880
	v_mad_u64_u32 v[14:15], s[14:15], s0, v18, v[14:15]
	v_add_u32_e32 v15, s2, v15
	s_waitcnt vmcnt(0)
	v_mul_f64 v[24:25], v[22:23], v[28:29]
	v_fmac_f64_e32 v[24:25], v[20:21], v[26:27]
	v_mul_f64 v[20:21], v[20:21], v[28:29]
	scratch_store_dwordx4 off, v[26:29], off offset:104 ; 16-byte Folded Spill
	s_nop 1
	v_fma_f64 v[26:27], v[22:23], v[26:27], -v[20:21]
	ds_write_b128 v180, v[24:27] offset:880
	global_load_dwordx4 v[20:23], v[14:15], off
	global_load_dwordx4 v[26:29], v[4:5], off offset:1184
	v_mad_u64_u32 v[14:15], s[14:15], s0, v18, v[14:15]
	v_add_u32_e32 v15, s2, v15
	s_waitcnt vmcnt(0)
	v_mul_f64 v[24:25], v[22:23], v[28:29]
	v_fmac_f64_e32 v[24:25], v[20:21], v[26:27]
	v_mul_f64 v[20:21], v[20:21], v[28:29]
	scratch_store_dwordx4 off, v[26:29], off offset:120 ; 16-byte Folded Spill
	s_nop 1
	v_fma_f64 v[26:27], v[22:23], v[26:27], -v[20:21]
	ds_write_b128 v180, v[24:27] offset:5280
	global_load_dwordx4 v[20:23], v[14:15], off
	global_load_dwordx4 v[26:29], v[2:3], off offset:1488
	;; [unrolled: 12-line block ×5, first 2 shown]
	v_mad_u64_u32 v[14:15], s[14:15], s0, v18, v[14:15]
	v_add_u32_e32 v15, s2, v15
	s_mov_b64 s[14:15], 0x6e
	v_lshl_add_u64 v[206:207], v[178:179], 0, s[14:15]
	s_waitcnt vmcnt(0)
	v_mul_f64 v[24:25], v[22:23], v[28:29]
	v_fmac_f64_e32 v[24:25], v[20:21], v[26:27]
	v_mul_f64 v[20:21], v[20:21], v[28:29]
	scratch_store_dwordx4 off, v[26:29], off offset:200 ; 16-byte Folded Spill
	s_nop 1
	v_fma_f64 v[26:27], v[22:23], v[26:27], -v[20:21]
	ds_write_b128 v180, v[24:27] offset:22880
	global_load_dwordx4 v[20:23], v[14:15], off
	global_load_dwordx4 v[26:29], v[8:9], off offset:2704
	v_mad_u64_u32 v[14:15], s[14:15], s0, v16, v[14:15]
	v_add_u32_e32 v15, s1, v15
	s_waitcnt vmcnt(0)
	v_mul_f64 v[24:25], v[22:23], v[28:29]
	v_fmac_f64_e32 v[24:25], v[20:21], v[26:27]
	v_mul_f64 v[20:21], v[20:21], v[28:29]
	scratch_store_dwordx4 off, v[26:29], off offset:428 ; 16-byte Folded Spill
	s_nop 1
	v_fma_f64 v[26:27], v[22:23], v[26:27], -v[20:21]
	ds_write_b128 v180, v[24:27] offset:27280
	global_load_dwordx4 v[20:23], v[14:15], off
	global_load_dwordx4 v[26:29], v180, s[8:9] offset:1760
	v_mad_u64_u32 v[14:15], s[14:15], s0, v18, v[14:15]
	v_add_u32_e32 v15, s2, v15
	s_waitcnt vmcnt(0)
	v_mul_f64 v[24:25], v[22:23], v[28:29]
	v_fmac_f64_e32 v[24:25], v[20:21], v[26:27]
	v_mul_f64 v[20:21], v[20:21], v[28:29]
	scratch_store_dwordx4 off, v[26:29], off offset:444 ; 16-byte Folded Spill
	s_nop 1
	v_fma_f64 v[26:27], v[22:23], v[26:27], -v[20:21]
	ds_write_b128 v180, v[24:27] offset:1760
	global_load_dwordx4 v[20:23], v[14:15], off
	global_load_dwordx4 v[26:29], v[4:5], off offset:2064
	v_mad_u64_u32 v[14:15], s[14:15], s0, v18, v[14:15]
	v_add_u32_e32 v15, s2, v15
	s_waitcnt vmcnt(0)
	v_mul_f64 v[24:25], v[22:23], v[28:29]
	v_fmac_f64_e32 v[24:25], v[20:21], v[26:27]
	v_mul_f64 v[20:21], v[20:21], v[28:29]
	scratch_store_dwordx4 off, v[26:29], off offset:460 ; 16-byte Folded Spill
	s_nop 1
	v_fma_f64 v[26:27], v[22:23], v[26:27], -v[20:21]
	ds_write_b128 v180, v[24:27] offset:6160
	global_load_dwordx4 v[20:23], v[14:15], off
	global_load_dwordx4 v[26:29], v[2:3], off offset:2368
	;; [unrolled: 12-line block ×5, first 2 shown]
	v_mad_u64_u32 v[14:15], s[14:15], s0, v18, v[14:15]
	v_add_u32_e32 v15, s2, v15
	s_mov_b64 s[14:15], 0xa5
	v_lshl_add_u64 v[190:191], v[178:179], 0, s[14:15]
	s_waitcnt vmcnt(0)
	v_mul_f64 v[24:25], v[22:23], v[28:29]
	v_fmac_f64_e32 v[24:25], v[20:21], v[26:27]
	v_mul_f64 v[20:21], v[20:21], v[28:29]
	scratch_store_dwordx4 off, v[26:29], off offset:364 ; 16-byte Folded Spill
	s_nop 1
	v_fma_f64 v[26:27], v[22:23], v[26:27], -v[20:21]
	ds_write_b128 v180, v[24:27] offset:23760
	global_load_dwordx4 v[20:23], v[14:15], off
	global_load_dwordx4 v[26:29], v[8:9], off offset:3584
	v_mad_u64_u32 v[14:15], s[14:15], s0, v16, v[14:15]
	v_add_u32_e32 v15, s1, v15
	s_waitcnt vmcnt(0)
	v_mul_f64 v[24:25], v[22:23], v[28:29]
	v_fmac_f64_e32 v[24:25], v[20:21], v[26:27]
	v_mul_f64 v[20:21], v[20:21], v[28:29]
	scratch_store_dwordx4 off, v[26:29], off offset:300 ; 16-byte Folded Spill
	s_nop 1
	v_fma_f64 v[26:27], v[22:23], v[26:27], -v[20:21]
	ds_write_b128 v180, v[24:27] offset:28160
	global_load_dwordx4 v[20:23], v[14:15], off
	global_load_dwordx4 v[26:29], v180, s[8:9] offset:2640
	v_mad_u64_u32 v[14:15], s[14:15], s0, v18, v[14:15]
	v_add_u32_e32 v15, s2, v15
	s_waitcnt vmcnt(0)
	v_mul_f64 v[24:25], v[22:23], v[28:29]
	v_fmac_f64_e32 v[24:25], v[20:21], v[26:27]
	v_mul_f64 v[20:21], v[20:21], v[28:29]
	scratch_store_dwordx4 off, v[26:29], off offset:380 ; 16-byte Folded Spill
	s_nop 1
	v_fma_f64 v[26:27], v[22:23], v[26:27], -v[20:21]
	ds_write_b128 v180, v[24:27] offset:2640
	global_load_dwordx4 v[20:23], v[14:15], off
	global_load_dwordx4 v[26:29], v[4:5], off offset:2944
	v_mad_u64_u32 v[14:15], s[14:15], s0, v18, v[14:15]
	v_add_u32_e32 v15, s2, v15
	s_waitcnt vmcnt(0)
	v_mul_f64 v[24:25], v[22:23], v[28:29]
	v_fmac_f64_e32 v[24:25], v[20:21], v[26:27]
	v_mul_f64 v[20:21], v[20:21], v[28:29]
	scratch_store_dwordx4 off, v[26:29], off offset:316 ; 16-byte Folded Spill
	s_nop 1
	v_fma_f64 v[26:27], v[22:23], v[26:27], -v[20:21]
	ds_write_b128 v180, v[24:27] offset:7040
	global_load_dwordx4 v[20:23], v[14:15], off
	global_load_dwordx4 v[26:29], v[2:3], off offset:3248
	s_waitcnt vmcnt(0)
	v_mul_f64 v[24:25], v[22:23], v[28:29]
	v_mul_f64 v[2:3], v[20:21], v[28:29]
	v_fmac_f64_e32 v[24:25], v[20:21], v[26:27]
	scratch_store_dwordx4 off, v[26:29], off offset:332 ; 16-byte Folded Spill
	s_nop 1
	v_fma_f64 v[26:27], v[22:23], v[26:27], -v[2:3]
	v_mad_u64_u32 v[2:3], s[14:15], s0, v18, v[14:15]
	ds_write_b128 v180, v[24:27] offset:11440
	v_add_u32_e32 v3, s2, v3
	global_load_dwordx4 v[20:23], v[2:3], off
	global_load_dwordx4 v[26:29], v[12:13], off offset:3552
	v_mad_u64_u32 v[2:3], s[14:15], s0, v18, v[2:3]
	v_add_u32_e32 v3, s2, v3
	s_waitcnt vmcnt(0)
	v_mul_f64 v[24:25], v[22:23], v[28:29]
	v_mul_f64 v[14:15], v[20:21], v[28:29]
	v_fmac_f64_e32 v[24:25], v[20:21], v[26:27]
	scratch_store_dwordx4 off, v[26:29], off offset:268 ; 16-byte Folded Spill
	s_nop 1
	v_fma_f64 v[26:27], v[22:23], v[26:27], -v[14:15]
	ds_write_b128 v180, v[24:27] offset:15840
	global_load_dwordx4 v[20:23], v[2:3], off
	global_load_dwordx4 v[26:29], v[6:7], off offset:3856
	v_mad_u64_u32 v[2:3], s[14:15], s0, v18, v[2:3]
	v_add_u32_e32 v3, s2, v3
	s_waitcnt vmcnt(0)
	v_mul_f64 v[24:25], v[22:23], v[28:29]
	v_mul_f64 v[14:15], v[20:21], v[28:29]
	v_fmac_f64_e32 v[24:25], v[20:21], v[26:27]
	scratch_store_dwordx4 off, v[26:29], off offset:284 ; 16-byte Folded Spill
	s_nop 1
	v_fma_f64 v[26:27], v[22:23], v[26:27], -v[14:15]
	ds_write_b128 v180, v[24:27] offset:20240
	global_load_dwordx4 v[20:23], v[2:3], off
	global_load_dwordx4 v[26:29], v[8:9], off offset:64
	s_waitcnt vmcnt(0)
	v_mul_f64 v[24:25], v[22:23], v[28:29]
	v_mul_f64 v[14:15], v[20:21], v[28:29]
	v_fmac_f64_e32 v[24:25], v[20:21], v[26:27]
	scratch_store_dwordx4 off, v[26:29], off offset:216 ; 16-byte Folded Spill
	s_nop 1
	v_fma_f64 v[26:27], v[22:23], v[26:27], -v[14:15]
	ds_write_b128 v180, v[24:27] offset:24640
	v_mad_u64_u32 v[24:25], s[14:15], s0, v18, v[2:3]
	v_add_co_u32_e32 v14, vcc, s3, v0
	v_add_u32_e32 v25, s2, v25
	s_nop 0
	v_addc_co_u32_e32 v15, vcc, 0, v1, vcc
	global_load_dwordx4 v[20:23], v[24:25], off
	global_load_dwordx4 v[26:29], v[14:15], off offset:368
	s_mov_b64 s[14:15], 0xdc
	v_lshl_add_u64 v[160:161], v[178:179], 0, s[14:15]
	v_mad_u64_u32 v[16:17], s[14:15], s0, v16, v[24:25]
	v_add_u32_e32 v17, s1, v17
	v_accvgpr_write_b32 a144, v160
	v_cmp_gt_u16_e32 vcc, 10, v178
	s_waitcnt vmcnt(0)
	v_mul_f64 v[0:1], v[22:23], v[28:29]
	v_mul_f64 v[2:3], v[20:21], v[28:29]
	v_fmac_f64_e32 v[0:1], v[20:21], v[26:27]
	v_fma_f64 v[2:3], v[22:23], v[26:27], -v[2:3]
	scratch_store_dwordx4 off, v[26:29], off offset:236 ; 16-byte Folded Spill
	ds_write_b128 v180, v[0:3] offset:29040
	global_load_dwordx4 v[0:3], v[16:17], off
	global_load_dwordx4 v[22:25], v180, s[8:9] offset:3520
	v_mad_u64_u32 v[16:17], s[14:15], s0, v18, v[16:17]
	v_add_u32_e32 v17, s2, v17
	s_waitcnt vmcnt(0)
	v_mul_f64 v[20:21], v[2:3], v[24:25]
	v_fmac_f64_e32 v[20:21], v[0:1], v[22:23]
	v_mul_f64 v[0:1], v[0:1], v[24:25]
	scratch_store_dwordx4 off, v[22:25], off offset:252 ; 16-byte Folded Spill
	s_nop 1
	v_fma_f64 v[22:23], v[2:3], v[22:23], -v[0:1]
	ds_write_b128 v180, v[20:23] offset:3520
	global_load_dwordx4 v[0:3], v[16:17], off
	global_load_dwordx4 v[22:25], v[4:5], off offset:3824
	v_mad_u64_u32 v[4:5], s[14:15], s0, v18, v[16:17]
	v_add_u32_e32 v5, s2, v5
	s_waitcnt vmcnt(0)
	v_mul_f64 v[20:21], v[2:3], v[24:25]
	v_fmac_f64_e32 v[20:21], v[0:1], v[22:23]
	v_mul_f64 v[0:1], v[0:1], v[24:25]
	scratch_store_dwordx4 off, v[22:25], off offset:484 ; 16-byte Folded Spill
	s_nop 1
	v_fma_f64 v[22:23], v[2:3], v[22:23], -v[0:1]
	ds_write_b128 v180, v[20:23] offset:7920
	global_load_dwordx4 v[0:3], v[4:5], off
	global_load_dwordx4 v[22:25], v[12:13], off offset:32
	;; [unrolled: 12-line block ×3, first 2 shown]
	v_mad_u64_u32 v[12:13], s[14:15], s0, v18, v[12:13]
	v_add_u32_e32 v13, s2, v13
	s_waitcnt vmcnt(0)
	v_mul_f64 v[4:5], v[2:3], v[22:23]
	v_fmac_f64_e32 v[4:5], v[0:1], v[20:21]
	v_mul_f64 v[0:1], v[0:1], v[22:23]
	v_fma_f64 v[6:7], v[2:3], v[20:21], -v[0:1]
	scratch_store_dwordx4 off, v[20:23], off offset:516 ; 16-byte Folded Spill
	ds_write_b128 v180, v[4:7] offset:16720
	global_load_dwordx4 v[0:3], v[12:13], off
	global_load_dwordx4 v[20:23], v[10:11], off offset:640
	s_waitcnt vmcnt(0)
	v_mul_f64 v[4:5], v[2:3], v[22:23]
	v_fmac_f64_e32 v[4:5], v[0:1], v[20:21]
	v_mul_f64 v[0:1], v[0:1], v[22:23]
	v_fma_f64 v[6:7], v[2:3], v[20:21], -v[0:1]
	v_mad_u64_u32 v[0:1], s[14:15], s0, v18, v[12:13]
	scratch_store_dwordx4 off, v[20:23], off offset:532 ; 16-byte Folded Spill
	ds_write_b128 v180, v[4:7] offset:21120
	v_add_u32_e32 v1, s2, v1
	global_load_dwordx4 v[2:5], v[0:1], off
	s_nop 0
	global_load_dwordx4 v[8:11], v[8:9], off offset:944
	v_mad_u64_u32 v[0:1], s[0:1], s0, v18, v[0:1]
	v_add_u32_e32 v1, s2, v1
	s_mov_b32 s2, 0x36b3c0b5
	s_mov_b32 s14, 0x429ad128
	;; [unrolled: 1-line block ×6, first 2 shown]
	s_waitcnt vmcnt(0)
	v_mul_f64 v[6:7], v[4:5], v[10:11]
	v_fmac_f64_e32 v[6:7], v[2:3], v[8:9]
	v_mul_f64 v[2:3], v[2:3], v[10:11]
	scratch_store_dwordx4 off, v[8:11], off offset:548 ; 16-byte Folded Spill
	s_nop 1
	v_fma_f64 v[8:9], v[4:5], v[8:9], -v[2:3]
	ds_write_b128 v180, v[6:9] offset:25520
	global_load_dwordx4 v[0:3], v[0:1], off
	s_nop 0
	global_load_dwordx4 v[6:9], v[14:15], off offset:1248
	s_waitcnt vmcnt(0)
	v_mul_f64 v[4:5], v[2:3], v[8:9]
	v_fmac_f64_e32 v[4:5], v[0:1], v[6:7]
	v_mul_f64 v[0:1], v[0:1], v[8:9]
	scratch_store_dwordx4 off, v[6:9], off offset:564 ; 16-byte Folded Spill
	s_nop 1
	v_fma_f64 v[6:7], v[2:3], v[6:7], -v[0:1]
	ds_write_b128 v180, v[4:7] offset:29920
	s_waitcnt lgkmcnt(0)
	; wave barrier
	s_waitcnt lgkmcnt(0)
	ds_read_b128 v[4:7], v180
	ds_read_b128 v[8:11], v180 offset:4400
	ds_read_b128 v[20:23], v180 offset:8800
	;; [unrolled: 1-line block ×34, first 2 shown]
	s_waitcnt lgkmcnt(14)
	v_add_f64 v[140:141], v[8:9], v[28:29]
	v_add_f64 v[8:9], v[8:9], -v[28:29]
	v_add_f64 v[28:29], v[20:21], v[24:25]
	v_add_f64 v[142:143], v[10:11], v[30:31]
	v_add_f64 v[10:11], v[10:11], -v[30:31]
	v_add_f64 v[30:31], v[22:23], v[26:27]
	v_add_f64 v[20:21], v[20:21], -v[24:25]
	;; [unrolled: 2-line block ×5, first 2 shown]
	v_add_f64 v[18:19], v[30:31], v[142:143]
	v_add_f64 v[16:17], v[24:25], v[16:17]
	;; [unrolled: 1-line block ×4, first 2 shown]
	v_add_f64 v[144:145], v[28:29], -v[140:141]
	v_add_f64 v[146:147], v[30:31], -v[142:143]
	;; [unrolled: 1-line block ×6, first 2 shown]
	v_add_f64 v[148:149], v[12:13], v[20:21]
	v_add_f64 v[150:151], v[14:15], v[22:23]
	v_add_f64 v[152:153], v[12:13], -v[20:21]
	v_add_f64 v[154:155], v[14:15], -v[22:23]
	;; [unrolled: 1-line block ×4, first 2 shown]
	v_add_f64 v[6:7], v[6:7], v[18:19]
	v_mov_b64_e32 v[156:157], v[4:5]
	v_add_f64 v[12:13], v[8:9], -v[12:13]
	v_add_f64 v[14:15], v[10:11], -v[14:15]
	v_add_f64 v[8:9], v[148:149], v[8:9]
	v_add_f64 v[10:11], v[150:151], v[10:11]
	v_mul_f64 v[24:25], v[140:141], s[26:27]
	v_mul_f64 v[26:27], v[142:143], s[26:27]
	;; [unrolled: 1-line block ×8, first 2 shown]
	v_fmac_f64_e32 v[156:157], s[24:25], v[16:17]
	v_mov_b64_e32 v[16:17], v[6:7]
	v_fmac_f64_e32 v[16:17], s[24:25], v[18:19]
	v_fma_f64 v[18:19], v[144:145], s[16:17], -v[140:141]
	v_fma_f64 v[140:141], v[146:147], s[16:17], -v[142:143]
	v_fma_f64 v[142:143], v[144:145], s[18:19], -v[24:25]
	v_fma_f64 v[144:145], v[20:21], s[14:15], -v[148:149]
	v_fmac_f64_e32 v[148:149], s[20:21], v[12:13]
	v_fma_f64 v[152:153], v[12:13], s[22:23], -v[152:153]
	v_fma_f64 v[12:13], v[14:15], s[22:23], -v[154:155]
	v_fmac_f64_e32 v[24:25], s[2:3], v[28:29]
	v_fma_f64 v[28:29], v[146:147], s[18:19], -v[26:27]
	v_fma_f64 v[146:147], v[22:23], s[14:15], -v[150:151]
	v_fmac_f64_e32 v[150:151], s[20:21], v[14:15]
	v_add_f64 v[14:15], v[18:19], v[156:157]
	v_add_f64 v[18:19], v[140:141], v[16:17]
	;; [unrolled: 1-line block ×3, first 2 shown]
	v_fmac_f64_e32 v[12:13], s[0:1], v[10:11]
	v_fmac_f64_e32 v[26:27], s[2:3], v[30:31]
	v_add_f64 v[154:155], v[24:25], v[156:157]
	v_add_f64 v[142:143], v[28:29], v[16:17]
	v_fmac_f64_e32 v[146:147], s[0:1], v[10:11]
	v_fmac_f64_e32 v[152:153], s[0:1], v[8:9]
	v_add_f64 v[24:25], v[140:141], v[12:13]
	v_add_f64 v[12:13], v[140:141], -v[12:13]
	v_add_f64 v[140:141], v[36:37], v[56:57]
	v_add_f64 v[36:37], v[36:37], -v[56:57]
	v_add_f64 v[56:57], v[44:45], v[52:53]
	v_add_f64 v[158:159], v[26:27], v[16:17]
	v_fmac_f64_e32 v[148:149], s[0:1], v[8:9]
	v_add_f64 v[26:27], v[142:143], -v[152:153]
	v_add_f64 v[20:21], v[14:15], -v[146:147]
	v_add_f64 v[16:17], v[14:15], v[146:147]
	v_add_f64 v[14:15], v[152:153], v[142:143]
	;; [unrolled: 1-line block ×3, first 2 shown]
	v_add_f64 v[38:39], v[38:39], -v[58:59]
	v_add_f64 v[58:59], v[46:47], v[54:55]
	v_add_f64 v[44:45], v[44:45], -v[52:53]
	v_add_f64 v[52:53], v[40:41], v[48:49]
	;; [unrolled: 2-line block ×3, first 2 shown]
	v_fmac_f64_e32 v[150:151], s[0:1], v[10:11]
	v_fmac_f64_e32 v[144:145], s[0:1], v[8:9]
	v_add_f64 v[30:31], v[158:159], -v[148:149]
	v_add_f64 v[10:11], v[148:149], v[158:159]
	v_add_f64 v[46:47], v[46:47], -v[54:55]
	v_add_f64 v[54:55], v[42:43], v[50:51]
	;; [unrolled: 2-line block ×3, first 2 shown]
	v_add_f64 v[148:149], v[40:41], v[44:45]
	v_add_f64 v[48:49], v[52:53], v[48:49]
	;; [unrolled: 1-line block ×4, first 2 shown]
	v_add_f64 v[18:19], v[18:19], -v[144:145]
	v_add_f64 v[8:9], v[154:155], -v[150:151]
	;; [unrolled: 1-line block ×5, first 2 shown]
	v_add_f64 v[150:151], v[42:43], v[46:47]
	v_add_f64 v[152:153], v[40:41], -v[44:45]
	v_add_f64 v[40:41], v[36:37], -v[40:41]
	;; [unrolled: 1-line block ×3, first 2 shown]
	v_add_f64 v[50:51], v[54:55], v[50:51]
	v_add_f64 v[52:53], v[148:149], v[36:37]
	;; [unrolled: 1-line block ×3, first 2 shown]
	v_add_f64 v[146:147], v[58:59], -v[142:143]
	v_add_f64 v[142:143], v[142:143], -v[54:55]
	;; [unrolled: 1-line block ×6, first 2 shown]
	v_add_f64 v[54:55], v[150:151], v[38:39]
	v_add_f64 v[38:39], v[34:35], v[50:51]
	v_mov_b64_e32 v[156:157], v[36:37]
	v_mul_f64 v[32:33], v[140:141], s[26:27]
	v_mul_f64 v[34:35], v[142:143], s[26:27]
	;; [unrolled: 1-line block ×8, first 2 shown]
	v_fmac_f64_e32 v[156:157], s[24:25], v[48:49]
	v_mov_b64_e32 v[48:49], v[38:39]
	v_fmac_f64_e32 v[48:49], s[24:25], v[50:51]
	v_fma_f64 v[50:51], v[144:145], s[16:17], -v[140:141]
	v_fma_f64 v[140:141], v[146:147], s[16:17], -v[142:143]
	;; [unrolled: 1-line block ×3, first 2 shown]
	v_fmac_f64_e32 v[32:33], s[2:3], v[56:57]
	v_fma_f64 v[56:57], v[146:147], s[18:19], -v[34:35]
	v_fma_f64 v[144:145], v[44:45], s[14:15], -v[148:149]
	v_fmac_f64_e32 v[148:149], s[20:21], v[40:41]
	v_fma_f64 v[146:147], v[40:41], s[22:23], -v[152:153]
	v_fma_f64 v[40:41], v[42:43], s[22:23], -v[154:155]
	;; [unrolled: 1-line block ×3, first 2 shown]
	v_add_f64 v[46:47], v[140:141], v[48:49]
	v_add_f64 v[140:141], v[142:143], v[156:157]
	v_fmac_f64_e32 v[40:41], s[0:1], v[54:55]
	v_fmac_f64_e32 v[34:35], s[2:3], v[58:59]
	v_fmac_f64_e32 v[150:151], s[20:21], v[42:43]
	v_add_f64 v[42:43], v[50:51], v[156:157]
	v_add_f64 v[142:143], v[56:57], v[48:49]
	v_fmac_f64_e32 v[148:149], s[0:1], v[52:53]
	v_fmac_f64_e32 v[144:145], s[0:1], v[52:53]
	;; [unrolled: 1-line block ×4, first 2 shown]
	v_add_f64 v[52:53], v[140:141], v[40:41]
	v_add_f64 v[40:41], v[140:141], -v[40:41]
	v_add_f64 v[140:141], v[68:69], v[84:85]
	v_add_f64 v[68:69], v[68:69], -v[84:85]
	v_add_f64 v[84:85], v[64:65], v[80:81]
	v_add_f64 v[34:35], v[34:35], v[48:49]
	v_fmac_f64_e32 v[150:151], s[0:1], v[54:55]
	v_add_f64 v[54:55], v[142:143], -v[146:147]
	v_add_f64 v[48:49], v[42:43], -v[44:45]
	v_add_f64 v[44:45], v[42:43], v[44:45]
	v_add_f64 v[42:43], v[146:147], v[142:143]
	;; [unrolled: 1-line block ×3, first 2 shown]
	v_add_f64 v[70:71], v[70:71], -v[86:87]
	v_add_f64 v[86:87], v[66:67], v[82:83]
	v_add_f64 v[64:65], v[64:65], -v[80:81]
	v_add_f64 v[80:81], v[72:73], v[76:77]
	;; [unrolled: 2-line block ×5, first 2 shown]
	v_add_f64 v[76:77], v[80:81], v[76:77]
	v_add_f64 v[32:33], v[32:33], v[156:157]
	v_add_f64 v[78:79], v[82:83], v[78:79]
	v_add_f64 v[60:61], v[60:61], v[76:77]
	v_add_f64 v[56:57], v[32:33], v[150:151]
	v_add_f64 v[50:51], v[144:145], v[46:47]
	v_add_f64 v[46:47], v[46:47], -v[144:145]
	v_add_f64 v[32:33], v[32:33], -v[150:151]
	;; [unrolled: 1-line block ×8, first 2 shown]
	v_add_f64 v[150:151], v[74:75], v[66:67]
	v_add_f64 v[154:155], v[74:75], -v[66:67]
	v_add_f64 v[66:67], v[66:67], -v[70:71]
	v_add_f64 v[62:63], v[62:63], v[78:79]
	v_mov_b64_e32 v[156:157], v[60:61]
	v_add_f64 v[58:59], v[34:35], -v[148:149]
	v_add_f64 v[34:35], v[148:149], v[34:35]
	v_add_f64 v[148:149], v[72:73], v[64:65]
	v_add_f64 v[152:153], v[72:73], -v[64:65]
	v_add_f64 v[74:75], v[70:71], -v[74:75]
	;; [unrolled: 1-line block ×3, first 2 shown]
	v_add_f64 v[70:71], v[150:151], v[70:71]
	v_mul_f64 v[80:81], v[140:141], s[26:27]
	v_mul_f64 v[82:83], v[142:143], s[26:27]
	;; [unrolled: 1-line block ×6, first 2 shown]
	v_fmac_f64_e32 v[156:157], s[24:25], v[76:77]
	v_mov_b64_e32 v[76:77], v[62:63]
	v_add_f64 v[72:73], v[68:69], -v[72:73]
	v_add_f64 v[68:69], v[148:149], v[68:69]
	v_mul_f64 v[148:149], v[152:153], s[28:29]
	v_mul_f64 v[152:153], v[64:65], s[14:15]
	v_fmac_f64_e32 v[76:77], s[24:25], v[78:79]
	v_fma_f64 v[78:79], v[144:145], s[16:17], -v[140:141]
	v_fma_f64 v[140:141], v[146:147], s[16:17], -v[142:143]
	;; [unrolled: 1-line block ×3, first 2 shown]
	v_fmac_f64_e32 v[80:81], s[2:3], v[84:85]
	v_fma_f64 v[84:85], v[146:147], s[18:19], -v[82:83]
	v_fma_f64 v[146:147], v[74:75], s[22:23], -v[154:155]
	;; [unrolled: 1-line block ×3, first 2 shown]
	v_fmac_f64_e32 v[148:149], s[20:21], v[72:73]
	v_fma_f64 v[66:67], v[66:67], s[14:15], -v[150:151]
	v_fmac_f64_e32 v[150:151], s[20:21], v[74:75]
	v_fma_f64 v[144:145], v[72:73], s[22:23], -v[152:153]
	v_add_f64 v[74:75], v[140:141], v[76:77]
	v_add_f64 v[140:141], v[142:143], v[156:157]
	v_fmac_f64_e32 v[146:147], s[0:1], v[70:71]
	v_fmac_f64_e32 v[82:83], s[2:3], v[86:87]
	v_add_f64 v[152:153], v[80:81], v[156:157]
	v_add_f64 v[142:143], v[84:85], v[76:77]
	v_fmac_f64_e32 v[148:149], s[0:1], v[68:69]
	v_fmac_f64_e32 v[64:65], s[0:1], v[68:69]
	;; [unrolled: 1-line block ×3, first 2 shown]
	v_add_f64 v[80:81], v[140:141], v[146:147]
	v_add_f64 v[68:69], v[140:141], -v[146:147]
	s_waitcnt lgkmcnt(7)
	v_add_f64 v[140:141], v[96:97], v[116:117]
	v_add_f64 v[96:97], v[96:97], -v[116:117]
	v_add_f64 v[116:117], v[108:109], v[112:113]
	v_add_f64 v[154:155], v[82:83], v[76:77]
	v_fmac_f64_e32 v[150:151], s[0:1], v[70:71]
	v_fmac_f64_e32 v[66:67], s[0:1], v[70:71]
	v_add_f64 v[82:83], v[142:143], -v[144:145]
	v_add_f64 v[70:71], v[144:145], v[142:143]
	v_add_f64 v[142:143], v[98:99], v[118:119]
	v_add_f64 v[98:99], v[98:99], -v[118:119]
	v_add_f64 v[118:119], v[110:111], v[114:115]
	v_add_f64 v[108:109], v[108:109], -v[112:113]
	;; [unrolled: 2-line block ×5, first 2 shown]
	v_add_f64 v[106:107], v[118:119], v[142:143]
	v_add_f64 v[104:105], v[112:113], v[104:105]
	;; [unrolled: 1-line block ×6, first 2 shown]
	v_add_f64 v[86:87], v[154:155], -v[148:149]
	v_add_f64 v[76:77], v[72:73], -v[66:67]
	v_add_f64 v[78:79], v[64:65], v[74:75]
	v_add_f64 v[72:73], v[72:73], v[66:67]
	v_add_f64 v[74:75], v[74:75], -v[64:65]
	v_add_f64 v[64:65], v[152:153], -v[150:151]
	v_add_f64 v[66:67], v[148:149], v[154:155]
	v_add_f64 v[144:145], v[116:117], -v[140:141]
	v_add_f64 v[146:147], v[118:119], -v[142:143]
	;; [unrolled: 1-line block ×6, first 2 shown]
	v_add_f64 v[148:149], v[100:101], v[108:109]
	v_add_f64 v[150:151], v[102:103], v[110:111]
	v_add_f64 v[152:153], v[100:101], -v[108:109]
	v_add_f64 v[154:155], v[102:103], -v[110:111]
	;; [unrolled: 1-line block ×4, first 2 shown]
	v_add_f64 v[90:91], v[90:91], v[106:107]
	v_mov_b64_e32 v[156:157], v[88:89]
	v_add_f64 v[100:101], v[96:97], -v[100:101]
	v_add_f64 v[102:103], v[98:99], -v[102:103]
	v_add_f64 v[96:97], v[148:149], v[96:97]
	v_add_f64 v[98:99], v[150:151], v[98:99]
	v_mul_f64 v[112:113], v[140:141], s[26:27]
	v_mul_f64 v[114:115], v[142:143], s[26:27]
	;; [unrolled: 1-line block ×8, first 2 shown]
	v_fmac_f64_e32 v[156:157], s[24:25], v[104:105]
	v_mov_b64_e32 v[104:105], v[90:91]
	v_fmac_f64_e32 v[104:105], s[24:25], v[106:107]
	v_fma_f64 v[106:107], v[144:145], s[16:17], -v[140:141]
	v_fma_f64 v[140:141], v[146:147], s[16:17], -v[142:143]
	v_fma_f64 v[142:143], v[144:145], s[18:19], -v[112:113]
	v_fma_f64 v[144:145], v[108:109], s[14:15], -v[148:149]
	v_fmac_f64_e32 v[148:149], s[20:21], v[100:101]
	v_fma_f64 v[152:153], v[100:101], s[22:23], -v[152:153]
	v_fma_f64 v[100:101], v[102:103], s[22:23], -v[154:155]
	v_fmac_f64_e32 v[112:113], s[2:3], v[116:117]
	v_fma_f64 v[116:117], v[146:147], s[18:19], -v[114:115]
	v_fma_f64 v[146:147], v[110:111], s[14:15], -v[150:151]
	v_fmac_f64_e32 v[150:151], s[20:21], v[102:103]
	v_add_f64 v[102:103], v[106:107], v[156:157]
	v_add_f64 v[106:107], v[140:141], v[104:105]
	;; [unrolled: 1-line block ×3, first 2 shown]
	v_fmac_f64_e32 v[100:101], s[0:1], v[98:99]
	v_fmac_f64_e32 v[114:115], s[2:3], v[118:119]
	v_add_f64 v[154:155], v[112:113], v[156:157]
	v_add_f64 v[142:143], v[116:117], v[104:105]
	v_fmac_f64_e32 v[146:147], s[0:1], v[98:99]
	v_fmac_f64_e32 v[152:153], s[0:1], v[96:97]
	v_add_f64 v[112:113], v[140:141], v[100:101]
	v_add_f64 v[100:101], v[140:141], -v[100:101]
	s_waitcnt lgkmcnt(0)
	v_add_f64 v[140:141], v[128:129], v[136:137]
	v_add_f64 v[128:129], v[128:129], -v[136:137]
	v_add_f64 v[136:137], v[124:125], v[132:133]
	v_add_f64 v[158:159], v[114:115], v[104:105]
	v_fmac_f64_e32 v[144:145], s[0:1], v[96:97]
	v_add_f64 v[114:115], v[142:143], -v[152:153]
	v_add_f64 v[108:109], v[102:103], -v[146:147]
	v_add_f64 v[104:105], v[102:103], v[146:147]
	v_add_f64 v[102:103], v[152:153], v[142:143]
	;; [unrolled: 1-line block ×3, first 2 shown]
	v_add_f64 v[130:131], v[130:131], -v[138:139]
	v_add_f64 v[138:139], v[126:127], v[134:135]
	v_add_f64 v[134:135], v[126:127], -v[134:135]
	v_add_f64 v[126:127], v[92:93], v[120:121]
	;; [unrolled: 2-line block ×3, first 2 shown]
	v_fmac_f64_e32 v[150:151], s[0:1], v[98:99]
	v_add_f64 v[110:111], v[144:145], v[106:107]
	v_add_f64 v[106:107], v[106:107], -v[144:145]
	v_add_f64 v[132:133], v[124:125], -v[132:133]
	v_add_f64 v[124:125], v[94:95], v[122:123]
	v_add_f64 v[94:95], v[122:123], -v[94:95]
	v_add_f64 v[122:123], v[138:139], v[142:143]
	v_add_f64 v[144:145], v[136:137], -v[140:141]
	v_add_f64 v[140:141], v[140:141], -v[126:127]
	;; [unrolled: 1-line block ×3, first 2 shown]
	v_add_f64 v[126:127], v[126:127], v[120:121]
	v_fmac_f64_e32 v[148:149], s[0:1], v[96:97]
	v_add_f64 v[116:117], v[154:155], v[150:151]
	v_add_f64 v[96:97], v[154:155], -v[150:151]
	v_add_f64 v[146:147], v[138:139], -v[142:143]
	v_add_f64 v[142:143], v[142:143], -v[124:125]
	v_add_f64 v[138:139], v[124:125], -v[138:139]
	v_add_f64 v[154:155], v[94:95], -v[134:135]
	v_add_f64 v[124:125], v[124:125], v[122:123]
	v_add_f64 v[120:121], v[0:1], v[126:127]
	v_add_f64 v[118:119], v[158:159], -v[148:149]
	v_add_f64 v[98:99], v[148:149], v[158:159]
	v_add_f64 v[148:149], v[92:93], v[132:133]
	v_add_f64 v[152:153], v[92:93], -v[132:133]
	v_add_f64 v[156:157], v[128:129], -v[92:93]
	v_add_f64 v[122:123], v[2:3], v[124:125]
	v_mul_f64 v[92:93], v[154:155], s[28:29]
	v_mov_b64_e32 v[154:155], v[120:121]
	v_add_f64 v[132:133], v[132:133], -v[128:129]
	v_add_f64 v[128:129], v[148:149], v[128:129]
	v_mul_f64 v[0:1], v[140:141], s[26:27]
	v_mul_f64 v[2:3], v[142:143], s[26:27]
	;; [unrolled: 1-line block ×5, first 2 shown]
	v_fmac_f64_e32 v[154:155], s[24:25], v[126:127]
	v_mov_b64_e32 v[126:127], v[122:123]
	v_fmac_f64_e32 v[126:127], s[24:25], v[124:125]
	v_fma_f64 v[124:125], s[2:3], v[136:137], v[0:1]
	v_fma_f64 v[136:137], v[144:145], s[16:17], -v[140:141]
	v_fma_f64 v[140:141], v[146:147], s[16:17], -v[142:143]
	;; [unrolled: 1-line block ×3, first 2 shown]
	v_fmac_f64_e32 v[2:3], s[2:3], v[138:139]
	v_fma_f64 v[138:139], v[132:133], s[14:15], -v[148:149]
	v_add_f64 v[150:151], v[94:95], v[134:135]
	v_add_f64 v[134:135], v[134:135], -v[130:131]
	v_add_f64 v[140:141], v[140:141], v[126:127]
	v_fmac_f64_e32 v[138:139], s[0:1], v[128:129]
	v_mul_f64 v[152:153], v[134:135], s[14:15]
	v_fma_f64 v[146:147], v[134:135], s[14:15], -v[92:93]
	v_add_f64 v[134:135], v[138:139], v[140:141]
	v_add_f64 v[138:139], v[140:141], -v[138:139]
	v_mul_lo_u16_e32 v140, 7, v178
	v_lshlrev_b32_e32 v140, 4, v140
	s_waitcnt lgkmcnt(0)
	; wave barrier
	ds_write_b128 v140, v[4:7]
	ds_write_b128 v140, v[28:31] offset:16
	ds_write_b128 v140, v[24:27] offset:32
	;; [unrolled: 1-line block ×5, first 2 shown]
	v_mul_u32_u24_e32 v4, 7, v204
	v_lshlrev_b32_e32 v4, 4, v4
	ds_write_b128 v140, v[8:11] offset:96
	ds_write_b128 v4, v[36:39]
	ds_write_b128 v4, v[56:59] offset:16
	ds_write_b128 v4, v[52:55] offset:32
	;; [unrolled: 1-line block ×5, first 2 shown]
	scratch_store_dword off, v4, off offset:796 ; 4-byte Folded Spill
	ds_write_b128 v4, v[32:35] offset:96
	v_mul_u32_u24_e32 v4, 7, v206
	v_lshlrev_b32_e32 v4, 4, v4
	v_add_f64 v[94:95], v[130:131], -v[94:95]
	v_add_f64 v[130:131], v[150:151], v[130:131]
	v_mul_f64 v[150:151], v[132:133], s[14:15]
	ds_write_b128 v4, v[60:63]
	ds_write_b128 v4, v[84:87] offset:16
	ds_write_b128 v4, v[80:83] offset:32
	;; [unrolled: 1-line block ×5, first 2 shown]
	scratch_store_dword off, v4, off offset:728 ; 4-byte Folded Spill
	ds_write_b128 v4, v[64:67] offset:96
	v_mul_u32_u24_e32 v4, 7, v190
	v_fma_f64 v[0:1], v[144:145], s[18:19], -v[0:1]
	v_fma_f64 v[144:145], s[20:21], v[156:157], v[148:149]
	v_fmac_f64_e32 v[92:93], s[20:21], v[94:95]
	v_fma_f64 v[148:149], v[156:157], s[22:23], -v[150:151]
	v_fma_f64 v[94:95], v[94:95], s[22:23], -v[152:153]
	v_lshlrev_b32_e32 v4, 4, v4
	v_add_f64 v[150:151], v[124:125], v[154:155]
	v_add_f64 v[152:153], v[2:3], v[126:127]
	;; [unrolled: 1-line block ×5, first 2 shown]
	v_fmac_f64_e32 v[144:145], s[0:1], v[128:129]
	v_fmac_f64_e32 v[92:93], s[0:1], v[130:131]
	v_fmac_f64_e32 v[146:147], s[0:1], v[130:131]
	v_fmac_f64_e32 v[148:149], s[0:1], v[128:129]
	v_fmac_f64_e32 v[94:95], s[0:1], v[130:131]
	ds_write_b128 v4, v[88:91]
	ds_write_b128 v4, v[116:119] offset:16
	ds_write_b128 v4, v[112:115] offset:32
	;; [unrolled: 1-line block ×5, first 2 shown]
	scratch_store_dword off, v4, off offset:480 ; 4-byte Folded Spill
	ds_write_b128 v4, v[96:99] offset:96
	v_mul_u32_u24_e32 v4, 7, v160
	v_add_f64 v[128:129], v[150:151], v[92:93]
	v_add_f64 v[130:131], v[152:153], -v[144:145]
	v_add_f64 v[124:125], v[0:1], v[94:95]
	v_add_f64 v[126:127], v[142:143], -v[148:149]
	v_add_f64 v[132:133], v[2:3], -v[146:147]
	v_add_f64 v[136:137], v[2:3], v[146:147]
	v_add_f64 v[0:1], v[0:1], -v[94:95]
	v_add_f64 v[92:93], v[150:151], -v[92:93]
	v_add_f64 v[94:95], v[144:145], v[152:153]
	v_lshlrev_b32_e32 v4, 4, v4
	v_add_f64 v[2:3], v[148:149], v[142:143]
	v_accvgpr_write_b32 a149, v140
	ds_write_b128 v4, v[120:123]
	ds_write_b128 v4, v[128:131] offset:16
	ds_write_b128 v4, v[124:127] offset:32
	;; [unrolled: 1-line block ×5, first 2 shown]
	scratch_store_dword off, v4, off offset:660 ; 4-byte Folded Spill
	ds_write_b128 v4, v[92:95] offset:96
	s_waitcnt lgkmcnt(0)
	; wave barrier
	s_waitcnt lgkmcnt(0)
	ds_read_b128 v[12:15], v180
	ds_read_b128 v[172:175], v180 offset:2800
	ds_read_b128 v[168:171], v180 offset:5600
	;; [unrolled: 1-line block ×32, first 2 shown]
                                        ; implicit-def: $vgpr48_vgpr49
                                        ; implicit-def: $vgpr52_vgpr53
                                        ; implicit-def: $vgpr60_vgpr61
                                        ; implicit-def: $vgpr16_vgpr17
                                        ; implicit-def: $vgpr28_vgpr29
                                        ; implicit-def: $vgpr36_vgpr37
                                        ; implicit-def: $vgpr40_vgpr41
                                        ; implicit-def: $vgpr24_vgpr25
                                        ; implicit-def: $vgpr32_vgpr33
	s_and_saveexec_b64 s[0:1], vcc
	s_cbranch_execz .LBB0_3
; %bb.2:
	ds_read_b128 v[0:3], v180 offset:2640
	ds_read_b128 v[92:95], v180 offset:5440
	ds_read_b128 v[48:51], v180 offset:8240
	ds_read_b128 v[52:55], v180 offset:11040
	ds_read_b128 v[60:63], v180 offset:13840
	ds_read_b128 v[16:19], v180 offset:16640
	ds_read_b128 v[28:31], v180 offset:19440
	ds_read_b128 v[36:39], v180 offset:22240
	ds_read_b128 v[40:43], v180 offset:25040
	ds_read_b128 v[24:27], v180 offset:27840
	ds_read_b128 v[32:35], v180 offset:30640
.LBB0_3:
	s_or_b64 exec, exec, s[0:1]
	v_mov_b32_e32 v184, 37
	v_mul_lo_u16_sdwa v176, v178, v184 dst_sel:DWORD dst_unused:UNUSED_PAD src0_sel:BYTE_0 src1_sel:DWORD
	v_sub_u16_sdwa v177, v178, v176 dst_sel:DWORD dst_unused:UNUSED_PAD src0_sel:DWORD src1_sel:BYTE_1
	v_lshrrev_b16_e32 v177, 1, v177
	v_and_b32_e32 v177, 0x7f, v177
	v_add_u16_sdwa v176, v177, v176 dst_sel:DWORD dst_unused:UNUSED_PAD src0_sel:DWORD src1_sel:BYTE_1
	v_lshrrev_b16_e32 v177, 2, v176
	v_mul_lo_u16_e32 v176, 7, v177
	v_sub_u16_e32 v176, v178, v176
	v_and_b32_e32 v181, 0xff, v176
	v_mul_u32_u24_e32 v176, 10, v181
	scratch_store_dwordx2 off, v[178:179], off ; 8-byte Folded Spill
	v_lshlrev_b32_e32 v176, 4, v176
	global_load_dwordx4 v[186:189], v176, s[10:11] offset:48
	global_load_dwordx4 v[192:195], v176, s[10:11] offset:32
	;; [unrolled: 1-line block ×3, first 2 shown]
	global_load_dwordx4 v[200:203], v176, s[10:11]
	v_accvgpr_write_b32 a255, v205
	v_accvgpr_write_b32 a254, v204
	;; [unrolled: 1-line block ×5, first 2 shown]
	s_mov_b32 s24, 0xf8bb580b
	s_mov_b32 s36, 0x8eee2c13
	;; [unrolled: 1-line block ×28, first 2 shown]
	s_waitcnt vmcnt(3) lgkmcnt(14)
	v_mul_f64 v[238:239], v[160:161], v[188:189]
	s_waitcnt vmcnt(2)
	v_mul_f64 v[246:247], v[164:165], v[194:195]
	s_waitcnt vmcnt(1)
	;; [unrolled: 2-line block ×3, first 2 shown]
	v_mul_f64 v[178:179], v[174:175], v[202:203]
	v_fma_f64 v[182:183], v[172:173], v[200:201], -v[178:179]
	v_mul_f64 v[172:173], v[172:173], v[202:203]
	v_fmac_f64_e32 v[172:173], v[174:175], v[200:201]
	v_mul_f64 v[174:175], v[170:171], v[198:199]
	v_fma_f64 v[178:179], v[168:169], v[196:197], -v[174:175]
	v_mul_f64 v[168:169], v[166:167], v[194:195]
	scratch_store_dwordx4 off, v[200:203], off offset:628 ; 16-byte Folded Spill
	scratch_store_dwordx4 off, v[196:199], off offset:612 ; 16-byte Folded Spill
	v_fma_f64 v[248:249], v[164:165], v[192:193], -v[168:169]
	scratch_store_dwordx4 off, v[192:195], off offset:596 ; 16-byte Folded Spill
	v_mul_f64 v[164:165], v[162:163], v[188:189]
	scratch_store_dwordx4 off, v[186:189], off offset:580 ; 16-byte Folded Spill
	v_fmac_f64_e32 v[246:247], v[166:167], v[192:193]
	v_fma_f64 v[240:241], v[160:161], v[186:187], -v[164:165]
	v_fmac_f64_e32 v[238:239], v[162:163], v[186:187]
	global_load_dwordx4 v[162:165], v176, s[10:11] offset:112
	global_load_dwordx4 v[166:169], v176, s[10:11] offset:96
	;; [unrolled: 1-line block ×4, first 2 shown]
	v_fmac_f64_e32 v[254:255], v[170:171], v[196:197]
	s_waitcnt vmcnt(3)
	v_mul_f64 v[250:251], v[144:145], v[164:165]
	s_waitcnt vmcnt(2)
	v_mul_f64 v[242:243], v[148:149], v[168:169]
	;; [unrolled: 2-line block ×4, first 2 shown]
	v_fma_f64 v[232:233], v[156:157], v[192:193], -v[160:161]
	v_mul_f64 v[230:231], v[156:157], v[194:195]
	v_mul_f64 v[156:157], v[154:155], v[188:189]
	v_fma_f64 v[236:237], v[152:153], v[186:187], -v[156:157]
	v_mul_f64 v[152:153], v[150:151], v[168:169]
	scratch_store_dwordx4 off, v[192:195], off offset:732 ; 16-byte Folded Spill
	scratch_store_dwordx4 off, v[186:189], off offset:712 ; 16-byte Folded Spill
	v_fma_f64 v[244:245], v[148:149], v[166:167], -v[152:153]
	scratch_store_dwordx4 off, v[166:169], off offset:680 ; 16-byte Folded Spill
	v_mul_f64 v[148:149], v[146:147], v[164:165]
	scratch_store_dwordx4 off, v[162:165], off offset:644 ; 16-byte Folded Spill
	v_fmac_f64_e32 v[242:243], v[150:151], v[166:167]
	v_fma_f64 v[252:253], v[144:145], v[162:163], -v[148:149]
	v_fmac_f64_e32 v[250:251], v[146:147], v[162:163]
	global_load_dwordx4 v[150:153], v176, s[10:11] offset:144
	global_load_dwordx4 v[146:149], v176, s[10:11] offset:128
	v_fmac_f64_e32 v[234:235], v[154:155], v[186:187]
	v_fmac_f64_e32 v[230:231], v[158:159], v[192:193]
	s_waitcnt vmcnt(1)
	scratch_store_dwordx4 off, v[150:153], off offset:664 ; 16-byte Folded Spill
	s_waitcnt vmcnt(1)
	v_mul_f64 v[144:145], v[142:143], v[148:149]
	v_fma_f64 v[144:145], v[140:141], v[146:147], -v[144:145]
	v_mul_f64 v[140:141], v[140:141], v[148:149]
	v_fmac_f64_e32 v[140:141], v[142:143], v[146:147]
	v_mul_f64 v[142:143], v[138:139], v[152:153]
	scratch_store_dwordx4 off, v[146:149], off offset:696 ; 16-byte Folded Spill
	v_fma_f64 v[154:155], v[136:137], v[150:151], -v[142:143]
	s_nop 0
	v_mul_f64 v[148:149], v[136:137], v[152:153]
	v_mul_lo_u16_sdwa v136, v204, v184 dst_sel:DWORD dst_unused:UNUSED_PAD src0_sel:BYTE_0 src1_sel:DWORD
	v_sub_u16_sdwa v137, v204, v136 dst_sel:DWORD dst_unused:UNUSED_PAD src0_sel:DWORD src1_sel:BYTE_1
	v_lshrrev_b16_e32 v137, 1, v137
	v_and_b32_e32 v137, 0x7f, v137
	v_add_u16_sdwa v136, v137, v136 dst_sel:DWORD dst_unused:UNUSED_PAD src0_sel:DWORD src1_sel:BYTE_1
	v_lshrrev_b16_e32 v137, 2, v136
	v_mul_lo_u16_e32 v136, 7, v137
	v_sub_u16_e32 v136, v204, v136
	v_accvgpr_write_b32 a0, v137
	v_and_b32_e32 v137, 0xff, v136
	v_mul_u32_u24_e32 v136, 10, v137
	v_fmac_f64_e32 v[148:149], v[138:139], v[150:151]
	v_lshlrev_b32_e32 v138, 4, v136
	global_load_dwordx4 v[150:153], v138, s[10:11] offset:48
	global_load_dwordx4 v[156:159], v138, s[10:11] offset:32
	;; [unrolled: 1-line block ×3, first 2 shown]
	global_load_dwordx4 v[164:167], v138, s[10:11]
	v_accvgpr_write_b32 a1, v137
	s_waitcnt vmcnt(3)
	scratch_store_dwordx4 off, v[150:153], off offset:800 ; 16-byte Folded Spill
	s_waitcnt vmcnt(3)
	scratch_store_dwordx4 off, v[156:159], off offset:780 ; 16-byte Folded Spill
	s_waitcnt vmcnt(3)
	v_mul_f64 v[224:225], v[128:129], v[162:163]
	s_waitcnt vmcnt(2)
	v_mul_f64 v[136:137], v[134:135], v[166:167]
	v_fma_f64 v[226:227], v[132:133], v[164:165], -v[136:137]
	v_mul_f64 v[228:229], v[132:133], v[166:167]
	v_mul_f64 v[132:133], v[130:131], v[162:163]
	v_fma_f64 v[222:223], v[128:129], v[160:161], -v[132:133]
	v_fmac_f64_e32 v[224:225], v[130:131], v[160:161]
	v_mul_f64 v[128:129], v[126:127], v[158:159]
	v_mul_f64 v[130:131], v[124:125], v[158:159]
	scratch_store_dwordx4 off, v[164:167], off offset:748 ; 16-byte Folded Spill
	scratch_store_dwordx4 off, v[160:163], off offset:764 ; 16-byte Folded Spill
	v_fma_f64 v[128:129], v[124:125], v[156:157], -v[128:129]
	v_fmac_f64_e32 v[130:131], v[126:127], v[156:157]
	v_mul_f64 v[124:125], v[122:123], v[152:153]
	v_mul_f64 v[126:127], v[120:121], v[152:153]
	v_fmac_f64_e32 v[228:229], v[134:135], v[164:165]
	v_fma_f64 v[124:125], v[120:121], v[150:151], -v[124:125]
	v_fmac_f64_e32 v[126:127], v[122:123], v[150:151]
	global_load_dwordx4 v[132:135], v138, s[10:11] offset:112
	global_load_dwordx4 v[150:153], v138, s[10:11] offset:96
	;; [unrolled: 1-line block ×4, first 2 shown]
	s_waitcnt vmcnt(0)
	v_mul_f64 v[120:121], v[118:119], v[162:163]
	v_fma_f64 v[120:121], v[116:117], v[160:161], -v[120:121]
	v_mul_f64 v[116:117], v[116:117], v[162:163]
	v_fmac_f64_e32 v[116:117], v[118:119], v[160:161]
	v_mul_f64 v[118:119], v[114:115], v[158:159]
	v_fma_f64 v[118:119], v[112:113], v[156:157], -v[118:119]
	v_mul_f64 v[112:113], v[112:113], v[158:159]
	v_fmac_f64_e32 v[112:113], v[114:115], v[156:157]
	;; [unrolled: 4-line block ×3, first 2 shown]
	s_waitcnt lgkmcnt(13)
	v_mul_f64 v[110:111], v[106:107], v[134:135]
	scratch_store_dwordx4 off, v[160:163], off offset:816 ; 16-byte Folded Spill
	scratch_store_dwordx4 off, v[156:159], off offset:832 ; 16-byte Folded Spill
	;; [unrolled: 1-line block ×3, first 2 shown]
	v_fma_f64 v[110:111], v[104:105], v[132:133], -v[110:111]
	v_mul_f64 v[104:105], v[104:105], v[134:135]
	scratch_store_dwordx4 off, v[132:135], off offset:864 ; 16-byte Folded Spill
	v_fmac_f64_e32 v[104:105], v[106:107], v[132:133]
	global_load_dwordx4 v[132:135], v138, s[10:11] offset:144
	s_nop 0
	global_load_dwordx4 v[136:139], v138, s[10:11] offset:128
	s_waitcnt vmcnt(1)
	v_accvgpr_write_b32 a8, v132
	s_waitcnt vmcnt(0) lgkmcnt(12)
	v_mul_f64 v[106:107], v[102:103], v[138:139]
	v_fma_f64 v[106:107], v[100:101], v[136:137], -v[106:107]
	v_mul_f64 v[100:101], v[100:101], v[138:139]
	v_fmac_f64_e32 v[100:101], v[102:103], v[136:137]
	s_waitcnt lgkmcnt(11)
	v_mul_f64 v[102:103], v[98:99], v[134:135]
	v_fma_f64 v[102:103], v[96:97], v[132:133], -v[102:103]
	v_mul_f64 v[96:97], v[96:97], v[134:135]
	v_fmac_f64_e32 v[96:97], v[98:99], v[132:133]
	v_mul_lo_u16_sdwa v98, v206, v184 dst_sel:DWORD dst_unused:UNUSED_PAD src0_sel:BYTE_0 src1_sel:DWORD
	v_sub_u16_sdwa v99, v206, v98 dst_sel:DWORD dst_unused:UNUSED_PAD src0_sel:DWORD src1_sel:BYTE_1
	v_lshrrev_b16_e32 v99, 1, v99
	v_and_b32_e32 v99, 0x7f, v99
	v_add_u16_sdwa v98, v99, v98 dst_sel:DWORD dst_unused:UNUSED_PAD src0_sel:DWORD src1_sel:BYTE_1
	v_lshrrev_b16_e32 v99, 2, v98
	v_mul_lo_u16_e32 v98, 7, v99
	v_accvgpr_write_b32 a12, v136
	v_sub_u16_e32 v98, v206, v98
	v_accvgpr_write_b32 a13, v137
	v_accvgpr_write_b32 a14, v138
	;; [unrolled: 1-line block ×3, first 2 shown]
	v_and_b32_e32 v136, 0xff, v98
	v_mul_u32_u24_e32 v98, 10, v136
	v_lshlrev_b32_e32 v122, 4, v98
	v_accvgpr_write_b32 a9, v133
	v_accvgpr_write_b32 a10, v134
	;; [unrolled: 1-line block ×3, first 2 shown]
	global_load_dwordx4 v[132:135], v122, s[10:11] offset:48
	global_load_dwordx4 v[150:153], v122, s[10:11] offset:32
	;; [unrolled: 1-line block ×3, first 2 shown]
	global_load_dwordx4 v[160:163], v122, s[10:11]
	v_accvgpr_write_b32 a2, v99
	v_mov_b32_e32 v137, 0
	s_waitcnt vmcnt(3) lgkmcnt(6)
	v_mul_f64 v[194:195], v[72:73], v[134:135]
	s_waitcnt vmcnt(2)
	v_mul_f64 v[202:203], v[76:77], v[152:153]
	s_waitcnt vmcnt(1)
	;; [unrolled: 2-line block ×3, first 2 shown]
	v_mul_f64 v[98:99], v[86:87], v[162:163]
	v_fma_f64 v[218:219], v[84:85], v[160:161], -v[98:99]
	v_mul_f64 v[216:217], v[84:85], v[162:163]
	v_mul_f64 v[84:85], v[82:83], v[158:159]
	v_fma_f64 v[212:213], v[80:81], v[156:157], -v[84:85]
	v_mul_f64 v[80:81], v[78:79], v[152:153]
	v_fma_f64 v[204:205], v[76:77], v[150:151], -v[80:81]
	v_accvgpr_write_b32 a20, v150
	v_mul_f64 v[76:77], v[74:75], v[134:135]
	v_fmac_f64_e32 v[210:211], v[82:83], v[156:157]
	v_accvgpr_write_b32 a21, v151
	v_accvgpr_write_b32 a22, v152
	;; [unrolled: 1-line block ×3, first 2 shown]
	v_fmac_f64_e32 v[202:203], v[78:79], v[150:151]
	v_fma_f64 v[196:197], v[72:73], v[132:133], -v[76:77]
	v_fmac_f64_e32 v[194:195], v[74:75], v[132:133]
	global_load_dwordx4 v[74:77], v122, s[10:11] offset:112
	global_load_dwordx4 v[78:81], v122, s[10:11] offset:96
	global_load_dwordx4 v[82:85], v122, s[10:11] offset:80
	global_load_dwordx4 v[150:153], v122, s[10:11] offset:64
	v_accvgpr_write_b32 a16, v132
	v_accvgpr_write_b32 a17, v133
	;; [unrolled: 1-line block ×12, first 2 shown]
	v_fmac_f64_e32 v[216:217], v[86:87], v[160:161]
	s_waitcnt vmcnt(3) lgkmcnt(2)
	v_mul_f64 v[206:207], v[44:45], v[76:77]
	s_waitcnt vmcnt(2)
	v_mul_f64 v[198:199], v[56:57], v[80:81]
	s_waitcnt vmcnt(1)
	;; [unrolled: 2-line block ×3, first 2 shown]
	v_mul_f64 v[72:73], v[70:71], v[152:153]
	v_fma_f64 v[134:135], v[68:69], v[150:151], -v[72:73]
	v_mul_f64 v[132:133], v[68:69], v[152:153]
	v_mul_f64 v[68:69], v[66:67], v[84:85]
	v_fma_f64 v[192:193], v[64:65], v[82:83], -v[68:69]
	v_mul_f64 v[64:65], v[58:59], v[80:81]
	v_fma_f64 v[200:201], v[56:57], v[78:79], -v[64:65]
	v_mul_f64 v[56:57], v[46:47], v[76:77]
	v_fmac_f64_e32 v[186:187], v[66:67], v[82:83]
	v_fmac_f64_e32 v[198:199], v[58:59], v[78:79]
	v_fma_f64 v[208:209], v[44:45], v[74:75], -v[56:57]
	global_load_dwordx4 v[56:59], v122, s[10:11] offset:144
	global_load_dwordx4 v[64:67], v122, s[10:11] offset:128
	v_fmac_f64_e32 v[132:133], v[70:71], v[150:151]
	v_fmac_f64_e32 v[206:207], v[46:47], v[74:75]
	v_accvgpr_write_b32 a44, v150
	v_accvgpr_write_b32 a45, v151
	;; [unrolled: 1-line block ×8, first 2 shown]
	v_add_f64 v[80:81], v[238:239], -v[242:243]
	v_accvgpr_write_b32 a40, v82
	v_accvgpr_write_b32 a32, v74
	v_add_f64 v[78:79], v[240:241], -v[244:245]
	v_accvgpr_write_b32 a41, v83
	v_accvgpr_write_b32 a42, v84
	;; [unrolled: 1-line block ×6, first 2 shown]
	v_add_f64 v[76:77], v[238:239], v[242:243]
	s_waitcnt vmcnt(1)
	v_accvgpr_write_b32 a48, v56
	s_waitcnt vmcnt(0) lgkmcnt(1)
	v_mul_f64 v[44:45], v[22:23], v[66:67]
	v_fma_f64 v[214:215], v[20:21], v[64:65], -v[44:45]
	v_mul_f64 v[20:21], v[20:21], v[66:67]
	v_fmac_f64_e32 v[20:21], v[22:23], v[64:65]
	s_waitcnt lgkmcnt(0)
	v_mul_f64 v[22:23], v[6:7], v[58:59]
	v_fma_f64 v[220:221], v[4:5], v[56:57], -v[22:23]
	v_mul_f64 v[22:23], v[4:5], v[58:59]
	v_mul_lo_u16_sdwa v4, v190, v184 dst_sel:DWORD dst_unused:UNUSED_PAD src0_sel:BYTE_0 src1_sel:DWORD
	v_sub_u16_sdwa v5, v190, v4 dst_sel:DWORD dst_unused:UNUSED_PAD src0_sel:DWORD src1_sel:BYTE_1
	v_lshrrev_b16_e32 v5, 1, v5
	v_and_b32_e32 v5, 0x7f, v5
	v_add_u16_sdwa v4, v5, v4 dst_sel:DWORD dst_unused:UNUSED_PAD src0_sel:DWORD src1_sel:BYTE_1
	v_lshrrev_b16_e32 v4, 2, v4
	scratch_store_dword off, v4, off offset:232 ; 4-byte Folded Spill
	v_mul_lo_u16_e32 v4, 7, v4
	v_sub_u16_e32 v4, v190, v4
	v_and_b32_e32 v4, 0xff, v4
	scratch_store_dword off, v4, off offset:476 ; 4-byte Folded Spill
	v_mul_u32_u24_e32 v4, 10, v4
	v_accvgpr_write_b32 a52, v64
	v_fmac_f64_e32 v[22:23], v[6:7], v[56:57]
	v_lshlrev_b32_e32 v6, 4, v4
	v_accvgpr_write_b32 a53, v65
	v_accvgpr_write_b32 a54, v66
	;; [unrolled: 1-line block ×6, first 2 shown]
	global_load_dwordx4 v[68:71], v6, s[10:11] offset:48
	global_load_dwordx4 v[64:67], v6, s[10:11] offset:32
	;; [unrolled: 1-line block ×3, first 2 shown]
	global_load_dwordx4 v[56:59], v6, s[10:11]
	s_waitcnt vmcnt(3)
	v_mul_f64 v[152:153], v[60:61], v[70:71]
	s_waitcnt vmcnt(2)
	v_mul_f64 v[150:151], v[52:53], v[66:67]
	;; [unrolled: 2-line block ×4, first 2 shown]
	v_fma_f64 v[156:157], v[92:93], v[56:57], -v[4:5]
	v_mul_f64 v[4:5], v[50:51], v[46:47]
	v_mul_f64 v[142:143], v[92:93], v[58:59]
	scratch_store_dwordx4 off, v[56:59], off offset:880 ; 16-byte Folded Spill
	v_fma_f64 v[160:161], v[48:49], v[44:45], -v[4:5]
	scratch_store_dwordx4 off, v[44:47], off offset:896 ; 16-byte Folded Spill
	v_mul_f64 v[4:5], v[54:55], v[66:67]
	scratch_store_dwordx4 off, v[64:67], off offset:912 ; 16-byte Folded Spill
	scratch_store_dwordx4 off, v[68:71], off offset:928 ; 16-byte Folded Spill
	v_fmac_f64_e32 v[142:143], v[94:95], v[56:57]
	v_fmac_f64_e32 v[146:147], v[50:51], v[44:45]
	v_fma_f64 v[170:171], v[52:53], v[64:65], -v[4:5]
	v_fmac_f64_e32 v[150:151], v[54:55], v[64:65]
	global_load_dwordx4 v[44:47], v6, s[10:11] offset:112
	global_load_dwordx4 v[48:51], v6, s[10:11] offset:96
	global_load_dwordx4 v[52:55], v6, s[10:11] offset:80
	global_load_dwordx4 v[56:59], v6, s[10:11] offset:64
	v_mul_f64 v[4:5], v[62:63], v[70:71]
	v_fma_f64 v[190:191], v[60:61], v[68:69], -v[4:5]
	v_fmac_f64_e32 v[152:153], v[62:63], v[68:69]
	v_accvgpr_write_b32 a4, v156
	v_accvgpr_write_b32 a5, v157
	;; [unrolled: 1-line block ×8, first 2 shown]
	s_waitcnt vmcnt(3)
	scratch_store_dwordx4 off, v[44:47], off offset:944 ; 16-byte Folded Spill
	s_waitcnt vmcnt(3)
	scratch_store_dwordx4 off, v[48:51], off offset:960 ; 16-byte Folded Spill
	s_waitcnt vmcnt(3)
	v_mul_f64 v[162:163], v[28:29], v[54:55]
	s_waitcnt vmcnt(2)
	v_mul_f64 v[4:5], v[18:19], v[58:59]
	v_fma_f64 v[4:5], v[16:17], v[56:57], -v[4:5]
	v_accvgpr_write_b32 a57, v5
	v_accvgpr_write_b32 a56, v4
	v_mul_f64 v[158:159], v[16:17], v[58:59]
	scratch_store_dwordx4 off, v[56:59], off offset:992 ; 16-byte Folded Spill
	v_mul_f64 v[4:5], v[30:31], v[54:55]
	scratch_store_dwordx4 off, v[52:55], off offset:1008 ; 16-byte Folded Spill
	v_fmac_f64_e32 v[158:159], v[18:19], v[56:57]
	v_fma_f64 v[4:5], v[28:29], v[52:53], -v[4:5]
	v_fmac_f64_e32 v[162:163], v[30:31], v[52:53]
	global_load_dwordx4 v[16:19], v6, s[10:11] offset:144
	global_load_dwordx4 v[28:31], v6, s[10:11] offset:128
	v_accvgpr_write_b32 a59, v5
	v_accvgpr_write_b32 a58, v4
	v_mul_f64 v[4:5], v[38:39], v[50:51]
	v_fma_f64 v[176:177], v[36:37], v[48:49], -v[4:5]
	v_mul_f64 v[4:5], v[42:43], v[46:47]
	v_mul_f64 v[168:169], v[40:41], v[46:47]
	;; [unrolled: 1-line block ×3, first 2 shown]
	v_fma_f64 v[164:165], v[40:41], v[44:45], -v[4:5]
	v_fmac_f64_e32 v[168:169], v[42:43], v[44:45]
	v_add_f64 v[42:43], v[172:173], -v[148:149]
	v_fmac_f64_e32 v[166:167], v[38:39], v[48:49]
	v_add_f64 v[38:39], v[182:183], v[154:155]
	v_add_f64 v[40:41], v[182:183], -v[154:155]
	v_mul_f64 v[44:45], v[42:43], s[20:21]
	v_mul_f64 v[52:53], v[42:43], s[22:23]
	;; [unrolled: 1-line block ×3, first 2 shown]
	v_fma_f64 v[46:47], v[38:39], s[14:15], -v[44:45]
	v_mul_f64 v[48:49], v[40:41], s[20:21]
	v_fmac_f64_e32 v[44:45], s[14:15], v[38:39]
	v_fma_f64 v[54:55], v[38:39], s[16:17], -v[52:53]
	v_mul_f64 v[56:57], v[40:41], s[22:23]
	v_fmac_f64_e32 v[52:53], s[16:17], v[38:39]
	v_add_f64 v[46:47], v[12:13], v[46:47]
	v_add_f64 v[44:45], v[12:13], v[44:45]
	;; [unrolled: 1-line block ×14, first 2 shown]
	v_add_f64 v[238:239], v[150:151], -v[168:169]
	v_accvgpr_write_b32 a92, v164
	v_accvgpr_write_b32 a93, v165
	;; [unrolled: 1-line block ×4, first 2 shown]
	s_waitcnt vmcnt(1)
	v_mul_f64 v[184:185], v[32:33], v[18:19]
	s_waitcnt vmcnt(0)
	v_mul_f64 v[4:5], v[26:27], v[30:31]
	v_fma_f64 v[188:189], v[24:25], v[28:29], -v[4:5]
	v_mul_f64 v[174:175], v[24:25], v[30:31]
	v_mul_f64 v[4:5], v[34:35], v[18:19]
	v_fmac_f64_e32 v[184:185], v[34:35], v[16:17]
	v_mul_f64 v[24:25], v[42:43], s[24:25]
	v_mul_f64 v[34:35], v[42:43], s[36:37]
	;; [unrolled: 1-line block ×3, first 2 shown]
	scratch_store_dwordx4 off, v[28:31], off offset:1024 ; 16-byte Folded Spill
	v_fmac_f64_e32 v[174:175], v[26:27], v[28:29]
	v_fma_f64 v[138:139], v[32:33], v[16:17], -v[4:5]
	scratch_store_dwordx4 off, v[16:19], off offset:976 ; 16-byte Folded Spill
	v_add_f64 v[32:33], v[172:173], v[148:149]
	v_mul_f64 v[26:27], v[40:41], s[24:25]
	v_fma_f64 v[16:17], v[38:39], s[0:1], -v[24:25]
	v_fmac_f64_e32 v[24:25], s[0:1], v[38:39]
	v_fma_f64 v[28:29], v[38:39], s[2:3], -v[34:35]
	v_fmac_f64_e32 v[34:35], s[2:3], v[38:39]
	v_fma_f64 v[60:61], v[38:39], s[18:19], -v[42:43]
	v_mul_f64 v[40:41], v[40:41], s[26:27]
	v_fmac_f64_e32 v[42:43], s[18:19], v[38:39]
	v_add_f64 v[4:5], v[12:13], v[182:183]
	v_add_f64 v[16:17], v[12:13], v[16:17]
	v_fma_f64 v[18:19], s[0:1], v[32:33], v[26:27]
	v_add_f64 v[24:25], v[12:13], v[24:25]
	v_fma_f64 v[26:27], v[32:33], s[0:1], -v[26:27]
	v_add_f64 v[28:29], v[12:13], v[28:29]
	v_fma_f64 v[30:31], s[2:3], v[32:33], v[36:37]
	v_add_f64 v[34:35], v[12:13], v[34:35]
	v_fma_f64 v[36:37], v[32:33], s[2:3], -v[36:37]
	v_fma_f64 v[50:51], s[14:15], v[32:33], v[48:49]
	v_fma_f64 v[48:49], v[32:33], s[14:15], -v[48:49]
	v_fma_f64 v[58:59], s[16:17], v[32:33], v[56:57]
	v_fma_f64 v[56:57], v[32:33], s[16:17], -v[56:57]
	v_add_f64 v[60:61], v[12:13], v[60:61]
	v_fma_f64 v[62:63], s[18:19], v[32:33], v[40:41]
	v_add_f64 v[12:13], v[12:13], v[42:43]
	v_fma_f64 v[32:33], v[32:33], s[18:19], -v[40:41]
	v_add_f64 v[42:43], v[254:255], -v[140:141]
	v_add_f64 v[18:19], v[14:15], v[18:19]
	v_add_f64 v[26:27], v[14:15], v[26:27]
	;; [unrolled: 1-line block ×11, first 2 shown]
	v_mul_f64 v[64:65], v[42:43], s[36:37]
	v_add_f64 v[40:41], v[178:179], -v[144:145]
	v_fma_f64 v[66:67], v[32:33], s[2:3], -v[64:65]
	v_add_f64 v[38:39], v[254:255], v[140:141]
	v_add_f64 v[16:17], v[66:67], v[16:17]
	v_mul_f64 v[66:67], v[40:41], s[36:37]
	v_fmac_f64_e32 v[64:65], s[2:3], v[32:33]
	v_add_f64 v[24:25], v[64:65], v[24:25]
	v_fma_f64 v[64:65], v[38:39], s[2:3], -v[66:67]
	v_add_f64 v[26:27], v[64:65], v[26:27]
	v_mul_f64 v[64:65], v[42:43], s[22:23]
	v_fma_f64 v[68:69], s[2:3], v[38:39], v[66:67]
	v_fma_f64 v[66:67], v[32:33], s[16:17], -v[64:65]
	v_add_f64 v[28:29], v[66:67], v[28:29]
	v_mul_f64 v[66:67], v[40:41], s[22:23]
	v_fmac_f64_e32 v[64:65], s[16:17], v[32:33]
	v_add_f64 v[34:35], v[64:65], v[34:35]
	v_fma_f64 v[64:65], v[38:39], s[16:17], -v[66:67]
	v_add_f64 v[36:37], v[64:65], v[36:37]
	v_mul_f64 v[64:65], v[42:43], s[38:39]
	v_add_f64 v[18:19], v[68:69], v[18:19]
	v_fma_f64 v[68:69], s[16:17], v[38:39], v[66:67]
	v_fma_f64 v[66:67], v[32:33], s[18:19], -v[64:65]
	v_add_f64 v[46:47], v[66:67], v[46:47]
	v_mul_f64 v[66:67], v[40:41], s[38:39]
	v_fmac_f64_e32 v[64:65], s[18:19], v[32:33]
	v_add_f64 v[44:45], v[64:65], v[44:45]
	v_fma_f64 v[64:65], v[38:39], s[18:19], -v[66:67]
	v_add_f64 v[48:49], v[64:65], v[48:49]
	v_mul_f64 v[64:65], v[42:43], s[34:35]
	v_add_f64 v[30:31], v[68:69], v[30:31]
	v_fma_f64 v[68:69], s[18:19], v[38:39], v[66:67]
	v_fma_f64 v[66:67], v[32:33], s[14:15], -v[64:65]
	v_add_f64 v[54:55], v[66:67], v[54:55]
	v_mul_f64 v[66:67], v[40:41], s[34:35]
	v_fmac_f64_e32 v[64:65], s[14:15], v[32:33]
	v_add_f64 v[52:53], v[64:65], v[52:53]
	v_fma_f64 v[64:65], v[38:39], s[14:15], -v[66:67]
	v_mul_f64 v[42:43], v[42:43], s[30:31]
	v_add_f64 v[56:57], v[64:65], v[56:57]
	v_fma_f64 v[64:65], v[32:33], s[0:1], -v[42:43]
	v_mul_f64 v[40:41], v[40:41], s[30:31]
	v_fmac_f64_e32 v[42:43], s[0:1], v[32:33]
	v_add_f64 v[60:61], v[64:65], v[60:61]
	v_fma_f64 v[64:65], s[0:1], v[38:39], v[40:41]
	v_add_f64 v[12:13], v[42:43], v[12:13]
	v_fma_f64 v[32:33], v[38:39], s[0:1], -v[40:41]
	v_add_f64 v[42:43], v[246:247], -v[250:251]
	v_add_f64 v[62:63], v[64:65], v[62:63]
	v_add_f64 v[14:15], v[32:33], v[14:15]
	;; [unrolled: 1-line block ×3, first 2 shown]
	v_mul_f64 v[64:65], v[42:43], s[20:21]
	v_add_f64 v[50:51], v[68:69], v[50:51]
	v_fma_f64 v[68:69], s[14:15], v[38:39], v[66:67]
	v_add_f64 v[40:41], v[248:249], -v[252:253]
	v_fma_f64 v[66:67], v[32:33], s[14:15], -v[64:65]
	v_add_f64 v[38:39], v[246:247], v[250:251]
	v_add_f64 v[16:17], v[66:67], v[16:17]
	v_mul_f64 v[66:67], v[40:41], s[20:21]
	v_fmac_f64_e32 v[64:65], s[14:15], v[32:33]
	v_add_f64 v[24:25], v[64:65], v[24:25]
	v_fma_f64 v[64:65], v[38:39], s[14:15], -v[66:67]
	v_add_f64 v[26:27], v[64:65], v[26:27]
	v_mul_f64 v[64:65], v[42:43], s[38:39]
	v_add_f64 v[58:59], v[68:69], v[58:59]
	v_fma_f64 v[68:69], s[14:15], v[38:39], v[66:67]
	v_fma_f64 v[66:67], v[32:33], s[18:19], -v[64:65]
	v_add_f64 v[28:29], v[66:67], v[28:29]
	v_mul_f64 v[66:67], v[40:41], s[38:39]
	v_fmac_f64_e32 v[64:65], s[18:19], v[32:33]
	v_add_f64 v[34:35], v[64:65], v[34:35]
	v_fma_f64 v[64:65], v[38:39], s[18:19], -v[66:67]
	v_add_f64 v[36:37], v[64:65], v[36:37]
	v_mul_f64 v[64:65], v[42:43], s[28:29]
	v_add_f64 v[18:19], v[68:69], v[18:19]
	v_fma_f64 v[68:69], s[18:19], v[38:39], v[66:67]
	v_fma_f64 v[66:67], v[32:33], s[2:3], -v[64:65]
	;; [unrolled: 10-line block ×3, first 2 shown]
	v_add_f64 v[66:67], v[66:67], v[54:55]
	v_mul_f64 v[54:55], v[40:41], s[24:25]
	v_fmac_f64_e32 v[64:65], s[0:1], v[32:33]
	v_add_f64 v[64:65], v[64:65], v[52:53]
	v_fma_f64 v[52:53], v[38:39], s[0:1], -v[54:55]
	v_mul_f64 v[42:43], v[42:43], s[22:23]
	v_mul_f64 v[40:41], v[40:41], s[22:23]
	v_add_f64 v[70:71], v[52:53], v[56:57]
	v_fma_f64 v[52:53], v[32:33], s[16:17], -v[42:43]
	v_fmac_f64_e32 v[42:43], s[16:17], v[32:33]
	v_fma_f64 v[32:33], v[38:39], s[16:17], -v[40:41]
	v_add_f64 v[72:73], v[52:53], v[60:61]
	v_fma_f64 v[52:53], s[16:17], v[38:39], v[40:41]
	v_add_f64 v[40:41], v[32:33], v[14:15]
	v_add_f64 v[14:15], v[240:241], v[244:245]
	v_mul_f64 v[32:33], v[80:81], s[22:23]
	v_add_f64 v[50:51], v[68:69], v[50:51]
	v_fma_f64 v[68:69], s[0:1], v[38:39], v[54:55]
	v_fma_f64 v[38:39], v[14:15], s[16:17], -v[32:33]
	v_add_f64 v[82:83], v[38:39], v[16:17]
	v_mul_f64 v[16:17], v[78:79], s[22:23]
	v_fma_f64 v[38:39], s[16:17], v[76:77], v[16:17]
	v_fma_f64 v[16:17], v[76:77], s[16:17], -v[16:17]
	v_add_f64 v[92:93], v[16:17], v[26:27]
	v_mul_f64 v[16:17], v[80:81], s[34:35]
	v_add_f64 v[84:85], v[38:39], v[18:19]
	v_fma_f64 v[18:19], v[14:15], s[14:15], -v[16:17]
	v_add_f64 v[74:75], v[52:53], v[62:63]
	v_add_f64 v[52:53], v[18:19], v[28:29]
	v_mul_f64 v[18:19], v[78:79], s[34:35]
	v_fmac_f64_e32 v[16:17], s[14:15], v[14:15]
	v_add_f64 v[56:57], v[16:17], v[34:35]
	v_fma_f64 v[16:17], v[76:77], s[14:15], -v[18:19]
	v_add_f64 v[68:69], v[68:69], v[58:59]
	v_fmac_f64_e32 v[32:33], s[16:17], v[14:15]
	v_add_f64 v[58:59], v[16:17], v[36:37]
	v_mul_f64 v[16:17], v[80:81], s[24:25]
	v_add_f64 v[86:87], v[32:33], v[24:25]
	v_fma_f64 v[24:25], s[14:15], v[76:77], v[18:19]
	v_fma_f64 v[18:19], v[14:15], s[0:1], -v[16:17]
	v_add_f64 v[60:61], v[18:19], v[46:47]
	v_mul_f64 v[18:19], v[78:79], s[24:25]
	v_fmac_f64_e32 v[16:17], s[0:1], v[14:15]
	v_add_f64 v[12:13], v[42:43], v[12:13]
	v_add_f64 v[42:43], v[16:17], v[44:45]
	v_fma_f64 v[16:17], v[76:77], s[0:1], -v[18:19]
	v_add_f64 v[38:39], v[16:17], v[48:49]
	v_mul_f64 v[16:17], v[80:81], s[26:27]
	v_add_f64 v[54:55], v[24:25], v[30:31]
	v_fma_f64 v[24:25], s[0:1], v[76:77], v[18:19]
	v_fma_f64 v[18:19], v[14:15], s[18:19], -v[16:17]
	v_add_f64 v[32:33], v[18:19], v[66:67]
	v_mul_f64 v[18:19], v[78:79], s[26:27]
	v_fmac_f64_e32 v[16:17], s[18:19], v[14:15]
	v_add_f64 v[62:63], v[24:25], v[50:51]
	v_fma_f64 v[24:25], s[18:19], v[76:77], v[18:19]
	v_add_f64 v[26:27], v[16:17], v[64:65]
	v_fma_f64 v[16:17], v[76:77], s[18:19], -v[18:19]
	v_mul_f64 v[28:29], v[80:81], s[28:29]
	v_add_f64 v[30:31], v[24:25], v[68:69]
	v_add_f64 v[24:25], v[16:17], v[70:71]
	v_fma_f64 v[16:17], v[14:15], s[2:3], -v[28:29]
	v_mul_f64 v[34:35], v[78:79], s[28:29]
	v_fmac_f64_e32 v[28:29], s[2:3], v[14:15]
	v_add_f64 v[14:15], v[28:29], v[12:13]
	v_fma_f64 v[12:13], v[76:77], s[2:3], -v[34:35]
	v_add_f64 v[12:13], v[12:13], v[40:41]
	v_add_f64 v[40:41], v[230:231], -v[234:235]
	v_add_f64 v[18:19], v[16:17], v[72:73]
	v_fma_f64 v[16:17], s[2:3], v[76:77], v[34:35]
	v_add_f64 v[34:35], v[232:233], v[236:237]
	v_mul_f64 v[64:65], v[40:41], s[30:31]
	v_add_f64 v[36:37], v[232:233], -v[236:237]
	v_fma_f64 v[66:67], v[34:35], s[0:1], -v[64:65]
	v_add_f64 v[28:29], v[230:231], v[234:235]
	v_add_f64 v[52:53], v[66:67], v[52:53]
	v_mul_f64 v[66:67], v[36:37], s[30:31]
	v_fmac_f64_e32 v[64:65], s[0:1], v[34:35]
	v_add_f64 v[56:57], v[64:65], v[56:57]
	v_fma_f64 v[64:65], v[28:29], s[0:1], -v[66:67]
	v_add_f64 v[58:59], v[64:65], v[58:59]
	v_mul_f64 v[64:65], v[40:41], s[22:23]
	v_fma_f64 v[68:69], s[0:1], v[28:29], v[66:67]
	v_fma_f64 v[66:67], v[34:35], s[16:17], -v[64:65]
	v_add_f64 v[60:61], v[66:67], v[60:61]
	v_mul_f64 v[66:67], v[36:37], s[22:23]
	v_fmac_f64_e32 v[64:65], s[16:17], v[34:35]
	v_add_f64 v[64:65], v[64:65], v[42:43]
	v_fma_f64 v[42:43], v[28:29], s[16:17], -v[66:67]
	v_add_f64 v[54:55], v[68:69], v[54:55]
	v_fma_f64 v[68:69], s[16:17], v[28:29], v[66:67]
	v_add_f64 v[66:67], v[42:43], v[38:39]
	v_mul_f64 v[38:39], v[40:41], s[28:29]
	v_fma_f64 v[42:43], v[34:35], s[2:3], -v[38:39]
	v_add_f64 v[62:63], v[68:69], v[62:63]
	v_add_f64 v[68:69], v[42:43], v[32:33]
	v_mul_f64 v[32:33], v[36:37], s[28:29]
	v_fmac_f64_e32 v[38:39], s[2:3], v[34:35]
	v_add_f64 v[72:73], v[38:39], v[26:27]
	v_fma_f64 v[26:27], v[28:29], s[2:3], -v[32:33]
	v_add_f64 v[16:17], v[16:17], v[74:75]
	v_add_f64 v[74:75], v[26:27], v[24:25]
	v_mul_f64 v[24:25], v[40:41], s[20:21]
	v_fma_f64 v[26:27], v[34:35], s[14:15], -v[24:25]
	v_mul_f64 v[48:49], v[40:41], s[26:27]
	v_add_f64 v[76:77], v[26:27], v[18:19]
	v_mul_f64 v[18:19], v[36:37], s[20:21]
	v_fmac_f64_e32 v[24:25], s[14:15], v[34:35]
	v_fma_f64 v[44:45], v[34:35], s[18:19], -v[48:49]
	v_add_f64 v[80:81], v[24:25], v[14:15]
	v_fma_f64 v[14:15], v[28:29], s[14:15], -v[18:19]
	v_add_f64 v[44:45], v[44:45], v[82:83]
	v_add_f64 v[82:83], v[14:15], v[12:13]
	;; [unrolled: 1-line block ×20, first 2 shown]
	v_mul_f64 v[50:51], v[36:37], s[26:27]
	v_add_f64 v[14:15], v[14:15], v[108:109]
	v_add_f64 v[12:13], v[12:13], v[110:111]
	;; [unrolled: 1-line block ×3, first 2 shown]
	v_fma_f64 v[46:47], s[18:19], v[28:29], v[50:51]
	v_fma_f64 v[50:51], v[28:29], s[18:19], -v[50:51]
	v_fma_f64 v[42:43], s[2:3], v[28:29], v[32:33]
	v_fma_f64 v[26:27], s[14:15], v[28:29], v[18:19]
	v_add_f64 v[14:15], v[14:15], v[104:105]
	v_add_f64 v[12:13], v[12:13], v[106:107]
	v_add_f64 v[24:25], v[226:227], -v[102:103]
	v_add_f64 v[4:5], v[4:5], v[252:253]
	v_add_f64 v[46:47], v[46:47], v[84:85]
	v_fmac_f64_e32 v[48:49], s[18:19], v[34:35]
	v_add_f64 v[50:51], v[50:51], v[92:93]
	v_add_f64 v[70:71], v[42:43], v[30:31]
	;; [unrolled: 1-line block ×7, first 2 shown]
	v_add_f64 v[26:27], v[228:229], -v[96:97]
	v_mul_f64 v[30:31], v[24:25], s[24:25]
	v_mul_f64 v[36:37], v[24:25], s[36:37]
	;; [unrolled: 1-line block ×5, first 2 shown]
	v_add_f64 v[4:5], v[4:5], v[144:145]
	v_add_f64 v[48:49], v[48:49], v[86:87]
	;; [unrolled: 1-line block ×3, first 2 shown]
	v_mul_f64 v[28:29], v[26:27], s[24:25]
	v_fma_f64 v[14:15], s[0:1], v[18:19], v[30:31]
	v_fma_f64 v[30:31], v[18:19], s[0:1], -v[30:31]
	v_mul_f64 v[32:33], v[26:27], s[36:37]
	v_fma_f64 v[38:39], s[2:3], v[18:19], v[36:37]
	v_fma_f64 v[36:37], v[18:19], s[2:3], -v[36:37]
	;; [unrolled: 3-line block ×5, first 2 shown]
	v_add_f64 v[14:15], v[90:91], v[14:15]
	v_add_f64 v[30:31], v[90:91], v[30:31]
	;; [unrolled: 1-line block ×8, first 2 shown]
	v_fma_f64 v[140:141], v[16:17], s[18:19], -v[26:27]
	v_add_f64 v[144:145], v[90:91], v[144:145]
	v_fmac_f64_e32 v[26:27], s[18:19], v[16:17]
	v_add_f64 v[18:19], v[90:91], v[18:19]
	v_add_f64 v[90:91], v[224:225], -v[100:101]
	v_fma_f64 v[12:13], v[16:17], s[0:1], -v[28:29]
	v_fmac_f64_e32 v[28:29], s[0:1], v[16:17]
	v_fma_f64 v[34:35], v[16:17], s[2:3], -v[32:33]
	v_fmac_f64_e32 v[32:33], s[2:3], v[16:17]
	;; [unrolled: 2-line block ×4, first 2 shown]
	v_add_f64 v[16:17], v[88:89], v[26:27]
	v_add_f64 v[24:25], v[222:223], v[106:107]
	;; [unrolled: 1-line block ×3, first 2 shown]
	v_mul_f64 v[100:101], v[90:91], s[36:37]
	v_add_f64 v[12:13], v[88:89], v[12:13]
	v_add_f64 v[28:29], v[88:89], v[28:29]
	;; [unrolled: 1-line block ×9, first 2 shown]
	v_add_f64 v[88:89], v[222:223], -v[106:107]
	v_fma_f64 v[106:107], v[24:25], s[2:3], -v[100:101]
	v_add_f64 v[12:13], v[106:107], v[12:13]
	v_mul_f64 v[106:107], v[88:89], s[36:37]
	v_fmac_f64_e32 v[100:101], s[2:3], v[24:25]
	v_add_f64 v[28:29], v[100:101], v[28:29]
	v_fma_f64 v[100:101], v[26:27], s[2:3], -v[106:107]
	v_add_f64 v[30:31], v[100:101], v[30:31]
	v_mul_f64 v[100:101], v[90:91], s[22:23]
	v_fma_f64 v[148:149], s[2:3], v[26:27], v[106:107]
	v_fma_f64 v[106:107], v[24:25], s[16:17], -v[100:101]
	v_add_f64 v[34:35], v[106:107], v[34:35]
	v_mul_f64 v[106:107], v[88:89], s[22:23]
	v_fmac_f64_e32 v[100:101], s[16:17], v[24:25]
	v_add_f64 v[32:33], v[100:101], v[32:33]
	v_fma_f64 v[100:101], v[26:27], s[16:17], -v[106:107]
	v_add_f64 v[36:37], v[100:101], v[36:37]
	v_mul_f64 v[100:101], v[90:91], s[38:39]
	v_add_f64 v[14:15], v[148:149], v[14:15]
	v_fma_f64 v[148:149], s[16:17], v[26:27], v[106:107]
	v_fma_f64 v[106:107], v[24:25], s[18:19], -v[100:101]
	v_add_f64 v[42:43], v[106:107], v[42:43]
	v_mul_f64 v[106:107], v[88:89], s[38:39]
	v_fmac_f64_e32 v[100:101], s[18:19], v[24:25]
	v_add_f64 v[40:41], v[100:101], v[40:41]
	v_fma_f64 v[100:101], v[26:27], s[18:19], -v[106:107]
	v_add_f64 v[92:93], v[100:101], v[92:93]
	v_mul_f64 v[100:101], v[90:91], s[34:35]
	v_add_f64 v[38:39], v[148:149], v[38:39]
	v_fma_f64 v[148:149], s[18:19], v[26:27], v[106:107]
	v_fma_f64 v[106:107], v[24:25], s[14:15], -v[100:101]
	v_add_f64 v[98:99], v[106:107], v[98:99]
	v_mul_f64 v[106:107], v[88:89], s[34:35]
	v_fmac_f64_e32 v[100:101], s[14:15], v[24:25]
	v_add_f64 v[96:97], v[100:101], v[96:97]
	v_fma_f64 v[100:101], v[26:27], s[14:15], -v[106:107]
	v_mul_f64 v[90:91], v[90:91], s[30:31]
	v_add_f64 v[100:101], v[100:101], v[102:103]
	v_fma_f64 v[102:103], v[24:25], s[0:1], -v[90:91]
	v_mul_f64 v[88:89], v[88:89], s[30:31]
	v_fmac_f64_e32 v[90:91], s[0:1], v[24:25]
	v_add_f64 v[16:17], v[90:91], v[16:17]
	v_fma_f64 v[24:25], v[26:27], s[0:1], -v[88:89]
	v_add_f64 v[90:91], v[130:131], -v[104:105]
	v_add_f64 v[94:95], v[148:149], v[94:95]
	v_fma_f64 v[148:149], s[14:15], v[26:27], v[106:107]
	v_fma_f64 v[106:107], s[0:1], v[26:27], v[88:89]
	v_add_f64 v[18:19], v[24:25], v[18:19]
	v_add_f64 v[24:25], v[128:129], v[110:111]
	;; [unrolled: 1-line block ×3, first 2 shown]
	v_mul_f64 v[104:105], v[90:91], s[20:21]
	v_add_f64 v[88:89], v[128:129], -v[110:111]
	v_fma_f64 v[110:111], v[24:25], s[14:15], -v[104:105]
	v_add_f64 v[12:13], v[110:111], v[12:13]
	v_mul_f64 v[110:111], v[88:89], s[20:21]
	v_fmac_f64_e32 v[104:105], s[14:15], v[24:25]
	v_add_f64 v[28:29], v[104:105], v[28:29]
	v_fma_f64 v[104:105], v[26:27], s[14:15], -v[110:111]
	v_add_f64 v[30:31], v[104:105], v[30:31]
	v_mul_f64 v[104:105], v[90:91], s[38:39]
	v_fma_f64 v[128:129], s[14:15], v[26:27], v[110:111]
	v_fma_f64 v[110:111], v[24:25], s[18:19], -v[104:105]
	v_add_f64 v[34:35], v[110:111], v[34:35]
	v_mul_f64 v[110:111], v[88:89], s[38:39]
	v_fmac_f64_e32 v[104:105], s[18:19], v[24:25]
	v_add_f64 v[32:33], v[104:105], v[32:33]
	v_fma_f64 v[104:105], v[26:27], s[18:19], -v[110:111]
	v_add_f64 v[36:37], v[104:105], v[36:37]
	v_mul_f64 v[104:105], v[90:91], s[28:29]
	v_add_f64 v[14:15], v[128:129], v[14:15]
	v_fma_f64 v[128:129], s[18:19], v[26:27], v[110:111]
	v_fma_f64 v[110:111], v[24:25], s[2:3], -v[104:105]
	v_add_f64 v[42:43], v[110:111], v[42:43]
	v_mul_f64 v[110:111], v[88:89], s[28:29]
	v_fmac_f64_e32 v[104:105], s[2:3], v[24:25]
	v_add_f64 v[40:41], v[104:105], v[40:41]
	v_fma_f64 v[104:105], v[26:27], s[2:3], -v[110:111]
	v_add_f64 v[92:93], v[104:105], v[92:93]
	v_mul_f64 v[104:105], v[90:91], s[24:25]
	v_add_f64 v[38:39], v[128:129], v[38:39]
	v_fma_f64 v[128:129], s[2:3], v[26:27], v[110:111]
	v_fma_f64 v[110:111], v[24:25], s[0:1], -v[104:105]
	v_add_f64 v[110:111], v[110:111], v[98:99]
	v_mul_f64 v[98:99], v[88:89], s[24:25]
	v_add_f64 v[122:123], v[148:149], v[122:123]
	v_add_f64 v[94:95], v[128:129], v[94:95]
	v_fma_f64 v[128:129], s[0:1], v[26:27], v[98:99]
	v_fmac_f64_e32 v[104:105], s[0:1], v[24:25]
	v_add_f64 v[122:123], v[128:129], v[122:123]
	v_add_f64 v[128:129], v[104:105], v[96:97]
	v_fma_f64 v[96:97], v[26:27], s[0:1], -v[98:99]
	v_mul_f64 v[90:91], v[90:91], s[22:23]
	v_add_f64 v[130:131], v[96:97], v[100:101]
	v_fma_f64 v[96:97], v[24:25], s[16:17], -v[90:91]
	v_mul_f64 v[88:89], v[88:89], s[22:23]
	v_fmac_f64_e32 v[90:91], s[16:17], v[24:25]
	v_add_f64 v[102:103], v[102:103], v[140:141]
	v_add_f64 v[90:91], v[90:91], v[16:17]
	v_fma_f64 v[16:17], v[26:27], s[16:17], -v[88:89]
	v_add_f64 v[140:141], v[96:97], v[102:103]
	v_fma_f64 v[96:97], s[16:17], v[26:27], v[88:89]
	v_add_f64 v[88:89], v[16:17], v[18:19]
	v_add_f64 v[18:19], v[126:127], -v[108:109]
	v_add_f64 v[148:149], v[124:125], v[114:115]
	v_mul_f64 v[24:25], v[18:19], s[22:23]
	v_add_f64 v[16:17], v[124:125], -v[114:115]
	v_fma_f64 v[26:27], v[148:149], s[16:17], -v[24:25]
	v_add_f64 v[4:5], v[4:5], v[154:155]
	v_add_f64 v[154:155], v[126:127], v[108:109]
	;; [unrolled: 1-line block ×3, first 2 shown]
	v_mul_f64 v[12:13], v[16:17], s[22:23]
	v_fma_f64 v[26:27], s[16:17], v[154:155], v[12:13]
	v_fma_f64 v[12:13], v[154:155], s[16:17], -v[12:13]
	v_add_f64 v[126:127], v[12:13], v[30:31]
	v_mul_f64 v[12:13], v[18:19], s[34:35]
	v_add_f64 v[106:107], v[106:107], v[144:145]
	v_add_f64 v[114:115], v[26:27], v[14:15]
	v_fma_f64 v[14:15], v[148:149], s[14:15], -v[12:13]
	v_add_f64 v[144:145], v[96:97], v[106:107]
	v_add_f64 v[96:97], v[14:15], v[34:35]
	v_mul_f64 v[14:15], v[16:17], s[34:35]
	v_fmac_f64_e32 v[12:13], s[14:15], v[148:149]
	v_add_f64 v[100:101], v[12:13], v[32:33]
	v_fma_f64 v[12:13], v[154:155], s[14:15], -v[14:15]
	v_fmac_f64_e32 v[24:25], s[16:17], v[148:149]
	v_add_f64 v[102:103], v[12:13], v[36:37]
	v_mul_f64 v[12:13], v[18:19], s[24:25]
	v_add_f64 v[124:125], v[24:25], v[28:29]
	v_fma_f64 v[24:25], s[14:15], v[154:155], v[14:15]
	v_fma_f64 v[14:15], v[148:149], s[0:1], -v[12:13]
	v_add_f64 v[104:105], v[14:15], v[42:43]
	v_mul_f64 v[14:15], v[16:17], s[24:25]
	v_fmac_f64_e32 v[12:13], s[0:1], v[148:149]
	v_add_f64 v[42:43], v[12:13], v[40:41]
	v_fma_f64 v[12:13], v[154:155], s[0:1], -v[14:15]
	v_add_f64 v[98:99], v[24:25], v[38:39]
	v_add_f64 v[38:39], v[12:13], v[92:93]
	v_mul_f64 v[12:13], v[18:19], s[26:27]
	v_fma_f64 v[24:25], s[0:1], v[154:155], v[14:15]
	v_fma_f64 v[14:15], v[148:149], s[18:19], -v[12:13]
	v_add_f64 v[32:33], v[14:15], v[110:111]
	v_mul_f64 v[14:15], v[16:17], s[26:27]
	v_fmac_f64_e32 v[12:13], s[18:19], v[148:149]
	v_add_f64 v[106:107], v[24:25], v[94:95]
	v_fma_f64 v[24:25], s[18:19], v[154:155], v[14:15]
	v_add_f64 v[26:27], v[12:13], v[128:129]
	v_fma_f64 v[12:13], v[154:155], s[18:19], -v[14:15]
	v_add_f64 v[30:31], v[24:25], v[122:123]
	v_add_f64 v[24:25], v[12:13], v[130:131]
	v_mul_f64 v[12:13], v[18:19], s[28:29]
	v_fma_f64 v[14:15], v[148:149], s[2:3], -v[12:13]
	v_mul_f64 v[28:29], v[16:17], s[28:29]
	v_add_f64 v[18:19], v[14:15], v[140:141]
	v_fma_f64 v[14:15], s[2:3], v[154:155], v[28:29]
	v_fmac_f64_e32 v[12:13], s[2:3], v[148:149]
	v_add_f64 v[40:41], v[116:117], -v[112:113]
	v_add_f64 v[16:17], v[14:15], v[144:145]
	v_add_f64 v[14:15], v[12:13], v[90:91]
	v_fma_f64 v[12:13], v[154:155], s[2:3], -v[28:29]
	v_add_f64 v[34:35], v[120:121], v[118:119]
	v_mul_f64 v[92:93], v[40:41], s[26:27]
	v_add_f64 v[12:13], v[12:13], v[88:89]
	v_fma_f64 v[88:89], v[34:35], s[18:19], -v[92:93]
	v_add_f64 v[88:89], v[88:89], v[108:109]
	v_mul_f64 v[108:109], v[40:41], s[30:31]
	v_add_f64 v[36:37], v[120:121], -v[118:119]
	v_fma_f64 v[110:111], v[34:35], s[0:1], -v[108:109]
	v_add_f64 v[28:29], v[116:117], v[112:113]
	v_add_f64 v[96:97], v[110:111], v[96:97]
	v_mul_f64 v[110:111], v[36:37], s[30:31]
	v_fmac_f64_e32 v[108:109], s[0:1], v[34:35]
	v_add_f64 v[100:101], v[108:109], v[100:101]
	v_fma_f64 v[108:109], v[28:29], s[0:1], -v[110:111]
	v_add_f64 v[102:103], v[108:109], v[102:103]
	v_mul_f64 v[108:109], v[40:41], s[22:23]
	v_fma_f64 v[112:113], s[0:1], v[28:29], v[110:111]
	v_fma_f64 v[110:111], v[34:35], s[16:17], -v[108:109]
	v_add_f64 v[104:105], v[110:111], v[104:105]
	v_mul_f64 v[110:111], v[36:37], s[22:23]
	v_fmac_f64_e32 v[108:109], s[16:17], v[34:35]
	v_add_f64 v[108:109], v[108:109], v[42:43]
	v_fma_f64 v[42:43], v[28:29], s[16:17], -v[110:111]
	v_add_f64 v[98:99], v[112:113], v[98:99]
	v_fma_f64 v[112:113], s[16:17], v[28:29], v[110:111]
	v_add_f64 v[110:111], v[42:43], v[38:39]
	v_mul_f64 v[38:39], v[40:41], s[28:29]
	v_fma_f64 v[42:43], v[34:35], s[2:3], -v[38:39]
	v_add_f64 v[106:107], v[112:113], v[106:107]
	v_add_f64 v[112:113], v[42:43], v[32:33]
	v_mul_f64 v[32:33], v[36:37], s[28:29]
	v_fmac_f64_e32 v[38:39], s[2:3], v[34:35]
	v_add_f64 v[116:117], v[38:39], v[26:27]
	v_fma_f64 v[26:27], v[28:29], s[2:3], -v[32:33]
	v_add_f64 v[118:119], v[26:27], v[24:25]
	v_mul_f64 v[24:25], v[40:41], s[20:21]
	v_fma_f64 v[26:27], v[34:35], s[14:15], -v[24:25]
	v_mul_f64 v[94:95], v[36:37], s[26:27]
	v_fmac_f64_e32 v[92:93], s[18:19], v[34:35]
	v_add_f64 v[120:121], v[26:27], v[18:19]
	v_mul_f64 v[18:19], v[36:37], s[20:21]
	v_fmac_f64_e32 v[24:25], s[14:15], v[34:35]
	v_fma_f64 v[90:91], s[18:19], v[28:29], v[94:95]
	v_add_f64 v[92:93], v[92:93], v[124:125]
	v_fma_f64 v[94:95], v[28:29], s[18:19], -v[94:95]
	v_add_f64 v[124:125], v[24:25], v[14:15]
	v_fma_f64 v[14:15], v[28:29], s[14:15], -v[18:19]
	v_add_f64 v[94:95], v[94:95], v[126:127]
	v_add_f64 v[126:127], v[14:15], v[12:13]
	;; [unrolled: 1-line block ×18, first 2 shown]
	v_fma_f64 v[42:43], s[2:3], v[28:29], v[32:33]
	v_fma_f64 v[26:27], s[14:15], v[28:29], v[18:19]
	v_add_f64 v[12:13], v[12:13], v[208:209]
	v_add_f64 v[130:131], v[14:15], v[22:23]
	;; [unrolled: 1-line block ×3, first 2 shown]
	v_add_f64 v[24:25], v[218:219], -v[220:221]
	v_add_f64 v[22:23], v[216:217], -v[22:23]
	v_add_f64 v[90:91], v[90:91], v[114:115]
	v_add_f64 v[114:115], v[42:43], v[30:31]
	;; [unrolled: 1-line block ×5, first 2 shown]
	v_mul_f64 v[26:27], v[22:23], s[24:25]
	v_mul_f64 v[28:29], v[24:25], s[24:25]
	;; [unrolled: 1-line block ×10, first 2 shown]
	v_add_f64 v[128:129], v[12:13], v[220:221]
	v_fma_f64 v[12:13], v[16:17], s[0:1], -v[26:27]
	v_fma_f64 v[14:15], s[0:1], v[18:19], v[28:29]
	v_fmac_f64_e32 v[26:27], s[0:1], v[16:17]
	v_fma_f64 v[28:29], v[18:19], s[0:1], -v[28:29]
	v_fma_f64 v[32:33], v[16:17], s[2:3], -v[30:31]
	v_fma_f64 v[36:37], s[2:3], v[18:19], v[34:35]
	v_fmac_f64_e32 v[30:31], s[2:3], v[16:17]
	v_fma_f64 v[34:35], v[18:19], s[2:3], -v[34:35]
	;; [unrolled: 4-line block ×5, first 2 shown]
	v_add_f64 v[18:19], v[210:211], v[20:21]
	v_add_f64 v[20:21], v[210:211], -v[20:21]
	v_add_f64 v[14:15], v[10:11], v[14:15]
	v_add_f64 v[28:29], v[10:11], v[28:29]
	;; [unrolled: 1-line block ×11, first 2 shown]
	v_mul_f64 v[24:25], v[20:21], s[36:37]
	v_add_f64 v[12:13], v[8:9], v[12:13]
	v_add_f64 v[26:27], v[8:9], v[26:27]
	;; [unrolled: 1-line block ×10, first 2 shown]
	v_add_f64 v[22:23], v[212:213], -v[214:215]
	v_fma_f64 v[210:211], v[16:17], s[2:3], -v[24:25]
	v_add_f64 v[12:13], v[210:211], v[12:13]
	v_mul_f64 v[210:211], v[22:23], s[36:37]
	v_fmac_f64_e32 v[24:25], s[2:3], v[16:17]
	v_add_f64 v[24:25], v[24:25], v[26:27]
	v_fma_f64 v[26:27], v[18:19], s[2:3], -v[210:211]
	v_add_f64 v[26:27], v[26:27], v[28:29]
	v_mul_f64 v[28:29], v[20:21], s[22:23]
	v_fma_f64 v[212:213], s[2:3], v[18:19], v[210:211]
	v_fma_f64 v[210:211], v[16:17], s[16:17], -v[28:29]
	v_add_f64 v[32:33], v[210:211], v[32:33]
	v_mul_f64 v[210:211], v[22:23], s[22:23]
	v_fmac_f64_e32 v[28:29], s[16:17], v[16:17]
	v_add_f64 v[28:29], v[28:29], v[30:31]
	v_fma_f64 v[30:31], v[18:19], s[16:17], -v[210:211]
	v_add_f64 v[30:31], v[30:31], v[34:35]
	v_mul_f64 v[34:35], v[20:21], s[38:39]
	v_add_f64 v[14:15], v[212:213], v[14:15]
	v_fma_f64 v[212:213], s[16:17], v[18:19], v[210:211]
	v_fma_f64 v[210:211], v[16:17], s[18:19], -v[34:35]
	v_add_f64 v[40:41], v[210:211], v[40:41]
	v_mul_f64 v[210:211], v[22:23], s[38:39]
	v_fmac_f64_e32 v[34:35], s[18:19], v[16:17]
	v_add_f64 v[34:35], v[34:35], v[38:39]
	v_fma_f64 v[38:39], v[18:19], s[18:19], -v[210:211]
	v_add_f64 v[38:39], v[38:39], v[42:43]
	v_mul_f64 v[42:43], v[20:21], s[34:35]
	v_add_f64 v[36:37], v[212:213], v[36:37]
	v_fma_f64 v[212:213], s[18:19], v[18:19], v[210:211]
	v_fma_f64 v[210:211], v[16:17], s[14:15], -v[42:43]
	v_add_f64 v[148:149], v[210:211], v[148:149]
	v_mul_f64 v[210:211], v[22:23], s[34:35]
	v_fmac_f64_e32 v[42:43], s[14:15], v[16:17]
	v_add_f64 v[42:43], v[42:43], v[144:145]
	v_fma_f64 v[144:145], v[18:19], s[14:15], -v[210:211]
	v_mul_f64 v[20:21], v[20:21], s[30:31]
	v_add_f64 v[144:145], v[144:145], v[154:155]
	v_fma_f64 v[154:155], v[16:17], s[0:1], -v[20:21]
	v_mul_f64 v[22:23], v[22:23], s[30:31]
	v_add_f64 v[154:155], v[154:155], v[178:179]
	v_fma_f64 v[178:179], s[0:1], v[18:19], v[22:23]
	v_fmac_f64_e32 v[20:21], s[0:1], v[16:17]
	v_fma_f64 v[16:17], v[18:19], s[0:1], -v[22:23]
	v_add_f64 v[22:23], v[202:203], -v[206:207]
	v_add_f64 v[178:179], v[178:179], v[182:183]
	v_add_f64 v[10:11], v[16:17], v[10:11]
	;; [unrolled: 1-line block ×3, first 2 shown]
	v_mul_f64 v[182:183], v[22:23], s[20:21]
	v_add_f64 v[140:141], v[212:213], v[140:141]
	v_fma_f64 v[212:213], s[14:15], v[18:19], v[210:211]
	v_add_f64 v[8:9], v[20:21], v[8:9]
	v_add_f64 v[18:19], v[202:203], v[206:207]
	v_add_f64 v[20:21], v[204:205], -v[208:209]
	v_fma_f64 v[202:203], v[16:17], s[14:15], -v[182:183]
	v_add_f64 v[12:13], v[202:203], v[12:13]
	v_mul_f64 v[202:203], v[20:21], s[20:21]
	v_fmac_f64_e32 v[182:183], s[14:15], v[16:17]
	v_add_f64 v[24:25], v[182:183], v[24:25]
	v_fma_f64 v[182:183], v[18:19], s[14:15], -v[202:203]
	v_add_f64 v[26:27], v[182:183], v[26:27]
	v_mul_f64 v[182:183], v[22:23], s[38:39]
	v_fma_f64 v[204:205], s[14:15], v[18:19], v[202:203]
	v_fma_f64 v[202:203], v[16:17], s[18:19], -v[182:183]
	v_add_f64 v[32:33], v[202:203], v[32:33]
	v_mul_f64 v[202:203], v[20:21], s[38:39]
	v_fmac_f64_e32 v[182:183], s[18:19], v[16:17]
	v_add_f64 v[28:29], v[182:183], v[28:29]
	v_fma_f64 v[182:183], v[18:19], s[18:19], -v[202:203]
	v_add_f64 v[30:31], v[182:183], v[30:31]
	v_mul_f64 v[182:183], v[22:23], s[28:29]
	v_add_f64 v[14:15], v[204:205], v[14:15]
	v_fma_f64 v[204:205], s[18:19], v[18:19], v[202:203]
	v_fma_f64 v[202:203], v[16:17], s[2:3], -v[182:183]
	v_add_f64 v[40:41], v[202:203], v[40:41]
	v_mul_f64 v[202:203], v[20:21], s[28:29]
	v_fmac_f64_e32 v[182:183], s[2:3], v[16:17]
	v_add_f64 v[34:35], v[182:183], v[34:35]
	v_fma_f64 v[182:183], v[18:19], s[2:3], -v[202:203]
	v_add_f64 v[38:39], v[182:183], v[38:39]
	v_mul_f64 v[182:183], v[22:23], s[24:25]
	v_add_f64 v[36:37], v[204:205], v[36:37]
	v_fma_f64 v[204:205], s[2:3], v[18:19], v[202:203]
	v_fma_f64 v[202:203], v[16:17], s[0:1], -v[182:183]
	v_add_f64 v[148:149], v[202:203], v[148:149]
	v_mul_f64 v[202:203], v[20:21], s[24:25]
	v_fmac_f64_e32 v[182:183], s[0:1], v[16:17]
	v_add_f64 v[42:43], v[182:183], v[42:43]
	v_fma_f64 v[182:183], v[18:19], s[0:1], -v[202:203]
	v_mul_f64 v[22:23], v[22:23], s[22:23]
	v_add_f64 v[144:145], v[182:183], v[144:145]
	v_fma_f64 v[182:183], v[16:17], s[16:17], -v[22:23]
	v_mul_f64 v[20:21], v[20:21], s[22:23]
	v_add_f64 v[140:141], v[204:205], v[140:141]
	v_fma_f64 v[204:205], s[0:1], v[18:19], v[202:203]
	v_add_f64 v[154:155], v[182:183], v[154:155]
	v_fma_f64 v[182:183], s[16:17], v[18:19], v[20:21]
	v_fmac_f64_e32 v[22:23], s[16:17], v[16:17]
	v_fma_f64 v[16:17], v[18:19], s[16:17], -v[20:21]
	v_add_f64 v[202:203], v[194:195], v[198:199]
	v_add_f64 v[194:195], v[194:195], -v[198:199]
	v_add_f64 v[178:179], v[182:183], v[178:179]
	v_add_f64 v[10:11], v[16:17], v[10:11]
	;; [unrolled: 1-line block ×3, first 2 shown]
	v_mul_f64 v[16:17], v[194:195], s[22:23]
	v_add_f64 v[196:197], v[196:197], -v[200:201]
	v_fma_f64 v[18:19], v[182:183], s[16:17], -v[16:17]
	v_add_f64 v[12:13], v[18:19], v[12:13]
	v_mul_f64 v[18:19], v[196:197], s[22:23]
	v_add_f64 v[8:9], v[22:23], v[8:9]
	v_fma_f64 v[20:21], s[16:17], v[202:203], v[18:19]
	v_fmac_f64_e32 v[16:17], s[16:17], v[182:183]
	v_mul_f64 v[22:23], v[196:197], s[34:35]
	v_add_f64 v[14:15], v[20:21], v[14:15]
	v_add_f64 v[198:199], v[16:17], v[24:25]
	v_fma_f64 v[16:17], v[202:203], s[16:17], -v[18:19]
	v_mul_f64 v[20:21], v[194:195], s[34:35]
	v_fma_f64 v[18:19], s[14:15], v[202:203], v[22:23]
	v_fma_f64 v[22:23], v[202:203], s[14:15], -v[22:23]
	v_add_f64 v[200:201], v[16:17], v[26:27]
	v_fma_f64 v[16:17], v[182:183], s[14:15], -v[20:21]
	v_fmac_f64_e32 v[20:21], s[14:15], v[182:183]
	v_add_f64 v[22:23], v[22:23], v[30:31]
	v_mul_f64 v[30:31], v[196:197], s[24:25]
	v_add_f64 v[18:19], v[18:19], v[36:37]
	v_add_f64 v[20:21], v[20:21], v[28:29]
	v_mul_f64 v[28:29], v[194:195], s[24:25]
	v_fma_f64 v[26:27], s[0:1], v[202:203], v[30:31]
	v_fma_f64 v[30:31], v[202:203], s[0:1], -v[30:31]
	v_mul_f64 v[36:37], v[194:195], s[26:27]
	v_add_f64 v[16:17], v[16:17], v[32:33]
	v_fma_f64 v[24:25], v[182:183], s[0:1], -v[28:29]
	v_add_f64 v[26:27], v[26:27], v[140:141]
	v_fmac_f64_e32 v[28:29], s[0:1], v[182:183]
	v_add_f64 v[30:31], v[30:31], v[38:39]
	v_fma_f64 v[32:33], v[182:183], s[18:19], -v[36:37]
	v_mul_f64 v[38:39], v[196:197], s[26:27]
	v_mul_f64 v[140:141], v[194:195], s[28:29]
	v_add_f64 v[172:173], v[212:213], v[172:173]
	v_add_f64 v[24:25], v[24:25], v[40:41]
	;; [unrolled: 1-line block ×4, first 2 shown]
	v_fma_f64 v[34:35], s[18:19], v[202:203], v[38:39]
	v_fmac_f64_e32 v[36:37], s[18:19], v[182:183]
	v_fma_f64 v[38:39], v[202:203], s[18:19], -v[38:39]
	v_fma_f64 v[40:41], v[182:183], s[2:3], -v[140:141]
	v_mul_f64 v[148:149], v[196:197], s[28:29]
	v_fmac_f64_e32 v[140:141], s[2:3], v[182:183]
	v_add_f64 v[172:173], v[204:205], v[172:173]
	v_add_f64 v[36:37], v[36:37], v[42:43]
	;; [unrolled: 1-line block ×3, first 2 shown]
	v_fma_f64 v[42:43], s[2:3], v[202:203], v[148:149]
	v_add_f64 v[144:145], v[140:141], v[8:9]
	v_fma_f64 v[8:9], v[202:203], s[2:3], -v[148:149]
	v_add_f64 v[148:149], v[132:133], v[186:187]
	v_add_f64 v[132:133], v[132:133], -v[186:187]
	v_add_f64 v[34:35], v[34:35], v[172:173]
	v_add_f64 v[40:41], v[40:41], v[154:155]
	;; [unrolled: 1-line block ×3, first 2 shown]
	v_add_f64 v[134:135], v[134:135], -v[192:193]
	v_mul_f64 v[172:173], v[132:133], s[26:27]
	v_add_f64 v[42:43], v[42:43], v[178:179]
	v_add_f64 v[140:141], v[8:9], v[10:11]
	v_fma_f64 v[8:9], v[154:155], s[18:19], -v[172:173]
	v_mul_f64 v[178:179], v[134:135], s[26:27]
	v_fmac_f64_e32 v[172:173], s[18:19], v[154:155]
	v_add_f64 v[8:9], v[8:9], v[12:13]
	v_fma_f64 v[10:11], s[18:19], v[148:149], v[178:179]
	v_add_f64 v[12:13], v[172:173], v[198:199]
	v_mul_f64 v[172:173], v[132:133], s[30:31]
	v_add_f64 v[10:11], v[10:11], v[14:15]
	v_fma_f64 v[14:15], v[148:149], s[18:19], -v[178:179]
	v_fma_f64 v[178:179], v[154:155], s[0:1], -v[172:173]
	v_add_f64 v[16:17], v[178:179], v[16:17]
	v_mul_f64 v[178:179], v[134:135], s[30:31]
	v_fmac_f64_e32 v[172:173], s[0:1], v[154:155]
	v_add_f64 v[20:21], v[172:173], v[20:21]
	v_fma_f64 v[172:173], v[148:149], s[0:1], -v[178:179]
	v_add_f64 v[22:23], v[172:173], v[22:23]
	v_mul_f64 v[172:173], v[132:133], s[22:23]
	v_fma_f64 v[182:183], s[0:1], v[148:149], v[178:179]
	v_fma_f64 v[178:179], v[154:155], s[16:17], -v[172:173]
	v_add_f64 v[24:25], v[178:179], v[24:25]
	v_mul_f64 v[178:179], v[134:135], s[22:23]
	v_fmac_f64_e32 v[172:173], s[16:17], v[154:155]
	v_add_f64 v[28:29], v[172:173], v[28:29]
	v_fma_f64 v[172:173], v[148:149], s[16:17], -v[178:179]
	v_add_f64 v[30:31], v[172:173], v[30:31]
	v_mul_f64 v[172:173], v[132:133], s[28:29]
	v_add_f64 v[18:19], v[182:183], v[18:19]
	v_fma_f64 v[182:183], s[16:17], v[148:149], v[178:179]
	v_fma_f64 v[178:179], v[154:155], s[2:3], -v[172:173]
	v_add_f64 v[32:33], v[178:179], v[32:33]
	v_mul_f64 v[178:179], v[134:135], s[28:29]
	v_fmac_f64_e32 v[172:173], s[2:3], v[154:155]
	v_add_f64 v[36:37], v[172:173], v[36:37]
	v_fma_f64 v[172:173], v[148:149], s[2:3], -v[178:179]
	v_mul_f64 v[132:133], v[132:133], s[20:21]
	v_add_f64 v[38:39], v[172:173], v[38:39]
	v_fma_f64 v[172:173], v[154:155], s[14:15], -v[132:133]
	v_mul_f64 v[134:135], v[134:135], s[20:21]
	v_fmac_f64_e32 v[132:133], s[14:15], v[154:155]
	v_add_f64 v[40:41], v[172:173], v[40:41]
	v_fma_f64 v[172:173], s[14:15], v[148:149], v[134:135]
	v_add_f64 v[132:133], v[132:133], v[144:145]
	v_add_f64 v[144:145], v[142:143], -v[184:185]
	v_add_f64 v[42:43], v[172:173], v[42:43]
	v_fma_f64 v[134:135], v[148:149], s[14:15], -v[134:135]
	v_add_f64 v[194:195], v[156:157], v[138:139]
	v_mul_f64 v[172:173], v[144:145], s[36:37]
	v_add_f64 v[26:27], v[182:183], v[26:27]
	v_fma_f64 v[182:183], s[2:3], v[148:149], v[178:179]
	v_add_f64 v[134:135], v[134:135], v[140:141]
	v_add_f64 v[140:141], v[156:157], -v[138:139]
	v_fma_f64 v[178:179], v[194:195], s[2:3], -v[172:173]
	v_add_f64 v[34:35], v[182:183], v[34:35]
	v_add_f64 v[196:197], v[142:143], v[184:185]
	v_add_f64 v[182:183], v[0:1], v[178:179]
	v_mul_f64 v[178:179], v[140:141], s[36:37]
	v_fma_f64 v[198:199], s[2:3], v[196:197], v[178:179]
	v_fma_f64 v[178:179], v[196:197], s[2:3], -v[178:179]
	v_add_f64 v[206:207], v[2:3], v[178:179]
	v_mul_f64 v[178:179], v[144:145], s[20:21]
	v_add_f64 v[204:205], v[2:3], v[198:199]
	v_fma_f64 v[198:199], v[194:195], s[14:15], -v[178:179]
	v_add_f64 v[208:209], v[0:1], v[198:199]
	v_mul_f64 v[198:199], v[140:141], s[20:21]
	v_fmac_f64_e32 v[178:179], s[14:15], v[194:195]
	v_add_f64 v[212:213], v[0:1], v[178:179]
	v_fma_f64 v[178:179], v[196:197], s[14:15], -v[198:199]
	v_add_f64 v[214:215], v[2:3], v[178:179]
	v_mul_f64 v[178:179], v[144:145], s[22:23]
	v_add_f64 v[14:15], v[14:15], v[200:201]
	v_fma_f64 v[200:201], s[14:15], v[196:197], v[198:199]
	v_fma_f64 v[198:199], v[194:195], s[16:17], -v[178:179]
	v_add_f64 v[216:217], v[0:1], v[198:199]
	v_mul_f64 v[198:199], v[140:141], s[22:23]
	v_fmac_f64_e32 v[178:179], s[16:17], v[194:195]
	v_mul_f64 v[186:187], v[144:145], s[24:25]
	v_add_f64 v[220:221], v[0:1], v[178:179]
	v_fma_f64 v[178:179], v[196:197], s[16:17], -v[198:199]
	v_mul_f64 v[144:145], v[144:145], s[26:27]
	v_mul_f64 v[192:193], v[140:141], s[24:25]
	v_add_f64 v[222:223], v[2:3], v[178:179]
	v_fma_f64 v[178:179], v[194:195], s[18:19], -v[144:145]
	v_mul_f64 v[140:141], v[140:141], s[26:27]
	v_add_f64 v[210:211], v[2:3], v[200:201]
	v_fma_f64 v[200:201], s[16:17], v[196:197], v[198:199]
	v_add_f64 v[224:225], v[0:1], v[178:179]
	v_fma_f64 v[178:179], s[18:19], v[196:197], v[140:141]
	v_add_f64 v[230:231], v[146:147], -v[174:175]
	v_fma_f64 v[148:149], s[0:1], v[194:195], v[186:187]
	v_add_f64 v[218:219], v[2:3], v[200:201]
	v_add_f64 v[226:227], v[2:3], v[178:179]
	;; [unrolled: 1-line block ×3, first 2 shown]
	v_add_f64 v[228:229], v[160:161], -v[188:189]
	v_mul_f64 v[178:179], v[230:231], s[36:37]
	v_add_f64 v[148:149], v[0:1], v[148:149]
	v_fma_f64 v[154:155], v[196:197], s[0:1], -v[192:193]
	v_add_f64 v[202:203], v[146:147], v[174:175]
	v_mul_f64 v[198:199], v[228:229], s[36:37]
	v_fma_f64 v[232:233], s[2:3], v[200:201], v[178:179]
	v_add_f64 v[154:155], v[2:3], v[154:155]
	v_add_f64 v[148:149], v[232:233], v[148:149]
	v_fma_f64 v[232:233], v[202:203], s[2:3], -v[198:199]
	v_add_f64 v[154:155], v[232:233], v[154:155]
	v_mul_f64 v[232:233], v[230:231], s[22:23]
	v_fma_f64 v[234:235], v[200:201], s[16:17], -v[232:233]
	v_add_f64 v[182:183], v[234:235], v[182:183]
	v_mul_f64 v[234:235], v[228:229], s[22:23]
	v_fmac_f64_e32 v[172:173], s[2:3], v[194:195]
	v_fma_f64 v[236:237], s[16:17], v[202:203], v[234:235]
	v_add_f64 v[172:173], v[0:1], v[172:173]
	v_add_f64 v[236:237], v[236:237], v[204:205]
	v_fmac_f64_e32 v[232:233], s[16:17], v[200:201]
	v_fma_f64 v[204:205], v[202:203], s[16:17], -v[234:235]
	v_add_f64 v[172:173], v[232:233], v[172:173]
	v_add_f64 v[232:233], v[204:205], v[206:207]
	v_mul_f64 v[204:205], v[230:231], s[38:39]
	v_fma_f64 v[206:207], v[200:201], s[18:19], -v[204:205]
	v_add_f64 v[208:209], v[206:207], v[208:209]
	v_mul_f64 v[206:207], v[228:229], s[38:39]
	v_fmac_f64_e32 v[204:205], s[18:19], v[200:201]
	v_add_f64 v[212:213], v[204:205], v[212:213]
	v_fma_f64 v[204:205], v[202:203], s[18:19], -v[206:207]
	v_add_f64 v[214:215], v[204:205], v[214:215]
	v_mul_f64 v[204:205], v[230:231], s[34:35]
	v_fma_f64 v[234:235], s[18:19], v[202:203], v[206:207]
	v_fma_f64 v[206:207], v[200:201], s[14:15], -v[204:205]
	v_add_f64 v[216:217], v[206:207], v[216:217]
	v_mul_f64 v[206:207], v[228:229], s[34:35]
	v_fmac_f64_e32 v[204:205], s[14:15], v[200:201]
	v_add_f64 v[220:221], v[204:205], v[220:221]
	v_fma_f64 v[204:205], v[202:203], s[14:15], -v[206:207]
	v_add_f64 v[222:223], v[204:205], v[222:223]
	v_mul_f64 v[204:205], v[230:231], s[30:31]
	v_add_f64 v[210:211], v[234:235], v[210:211]
	v_fma_f64 v[234:235], s[14:15], v[202:203], v[206:207]
	v_fma_f64 v[206:207], v[200:201], s[0:1], -v[204:205]
	v_fmac_f64_e32 v[144:145], s[18:19], v[194:195]
	v_add_f64 v[224:225], v[206:207], v[224:225]
	v_mul_f64 v[206:207], v[228:229], s[30:31]
	v_add_f64 v[144:145], v[0:1], v[144:145]
	v_fma_f64 v[140:141], v[196:197], s[18:19], -v[140:141]
	v_fma_f64 v[228:229], s[0:1], v[202:203], v[206:207]
	v_fmac_f64_e32 v[204:205], s[0:1], v[200:201]
	v_add_f64 v[140:141], v[2:3], v[140:141]
	v_add_f64 v[226:227], v[228:229], v[226:227]
	;; [unrolled: 1-line block ×3, first 2 shown]
	v_fma_f64 v[144:145], v[202:203], s[0:1], -v[206:207]
	v_add_f64 v[218:219], v[234:235], v[218:219]
	v_add_f64 v[230:231], v[144:145], v[140:141]
	;; [unrolled: 1-line block ×3, first 2 shown]
	v_add_f64 v[234:235], v[170:171], -v[164:165]
	v_mul_f64 v[140:141], v[238:239], s[20:21]
	v_add_f64 v[204:205], v[150:151], v[168:169]
	v_mul_f64 v[206:207], v[234:235], s[20:21]
	v_fma_f64 v[240:241], s[14:15], v[144:145], v[140:141]
	v_add_f64 v[148:149], v[240:241], v[148:149]
	v_fma_f64 v[240:241], v[204:205], s[14:15], -v[206:207]
	v_add_f64 v[154:155], v[240:241], v[154:155]
	v_mul_f64 v[240:241], v[238:239], s[38:39]
	v_fma_f64 v[242:243], v[144:145], s[18:19], -v[240:241]
	v_add_f64 v[242:243], v[242:243], v[182:183]
	v_mul_f64 v[182:183], v[234:235], s[38:39]
	v_fmac_f64_e32 v[240:241], s[18:19], v[144:145]
	v_add_f64 v[240:241], v[240:241], v[172:173]
	v_fma_f64 v[172:173], v[204:205], s[18:19], -v[182:183]
	v_add_f64 v[232:233], v[172:173], v[232:233]
	v_mul_f64 v[172:173], v[238:239], s[28:29]
	v_fma_f64 v[244:245], s[18:19], v[204:205], v[182:183]
	v_fma_f64 v[182:183], v[144:145], s[2:3], -v[172:173]
	v_add_f64 v[252:253], v[182:183], v[208:209]
	v_mul_f64 v[182:183], v[234:235], s[28:29]
	v_fmac_f64_e32 v[172:173], s[2:3], v[144:145]
	v_add_f64 v[212:213], v[172:173], v[212:213]
	v_fma_f64 v[172:173], v[204:205], s[2:3], -v[182:183]
	v_add_f64 v[214:215], v[172:173], v[214:215]
	v_mul_f64 v[172:173], v[238:239], s[24:25]
	v_fma_f64 v[208:209], s[2:3], v[204:205], v[182:183]
	v_fma_f64 v[182:183], v[144:145], s[0:1], -v[172:173]
	v_add_f64 v[216:217], v[182:183], v[216:217]
	v_mul_f64 v[182:183], v[234:235], s[24:25]
	v_fmac_f64_e32 v[172:173], s[0:1], v[144:145]
	v_add_f64 v[220:221], v[172:173], v[220:221]
	v_fma_f64 v[172:173], v[204:205], s[0:1], -v[182:183]
	v_add_f64 v[222:223], v[172:173], v[222:223]
	v_mul_f64 v[172:173], v[238:239], s[22:23]
	v_add_f64 v[254:255], v[208:209], v[210:211]
	v_fma_f64 v[208:209], s[0:1], v[204:205], v[182:183]
	v_fma_f64 v[182:183], v[144:145], s[16:17], -v[172:173]
	v_accvgpr_write_b32 a96, v138
	v_add_f64 v[156:157], v[182:183], v[224:225]
	v_mul_f64 v[182:183], v[234:235], s[22:23]
	v_fmac_f64_e32 v[172:173], s[16:17], v[144:145]
	v_accvgpr_write_b32 a97, v139
	v_add_f64 v[160:161], v[172:173], v[228:229]
	v_fma_f64 v[172:173], v[204:205], s[16:17], -v[182:183]
	v_add_f64 v[138:139], v[152:153], -v[166:167]
	v_add_f64 v[218:219], v[208:209], v[218:219]
	v_fma_f64 v[208:209], s[16:17], v[204:205], v[182:183]
	v_add_f64 v[164:165], v[172:173], v[230:231]
	v_add_f64 v[182:183], v[190:191], v[176:177]
	v_add_f64 v[170:171], v[190:191], -v[176:177]
	v_mul_f64 v[172:173], v[138:139], s[22:23]
	v_add_f64 v[234:235], v[208:209], v[226:227]
	v_add_f64 v[208:209], v[152:153], v[166:167]
	v_mul_f64 v[210:211], v[170:171], s[22:23]
	v_fma_f64 v[224:225], s[16:17], v[182:183], v[172:173]
	v_accvgpr_write_b32 a94, v188
	v_add_f64 v[176:177], v[224:225], v[148:149]
	v_fma_f64 v[148:149], v[208:209], s[16:17], -v[210:211]
	v_accvgpr_write_b32 a95, v189
	v_add_f64 v[188:189], v[148:149], v[154:155]
	v_mul_f64 v[148:149], v[138:139], s[34:35]
	v_fma_f64 v[154:155], v[182:183], s[14:15], -v[148:149]
	v_add_f64 v[248:249], v[154:155], v[242:243]
	v_mul_f64 v[154:155], v[170:171], s[34:35]
	v_fmac_f64_e32 v[148:149], s[14:15], v[182:183]
	v_add_f64 v[236:237], v[244:245], v[236:237]
	v_add_f64 v[244:245], v[148:149], v[240:241]
	v_fma_f64 v[148:149], v[208:209], s[14:15], -v[154:155]
	v_add_f64 v[246:247], v[148:149], v[232:233]
	v_mul_f64 v[148:149], v[138:139], s[24:25]
	v_fma_f64 v[224:225], s[14:15], v[208:209], v[154:155]
	v_fma_f64 v[154:155], v[182:183], s[0:1], -v[148:149]
	v_add_f64 v[240:241], v[154:155], v[252:253]
	v_mul_f64 v[154:155], v[170:171], s[24:25]
	v_fmac_f64_e32 v[148:149], s[0:1], v[182:183]
	v_add_f64 v[250:251], v[224:225], v[236:237]
	v_add_f64 v[236:237], v[148:149], v[212:213]
	v_fma_f64 v[148:149], v[208:209], s[0:1], -v[154:155]
	v_add_f64 v[238:239], v[148:149], v[214:215]
	v_mul_f64 v[148:149], v[138:139], s[26:27]
	v_fma_f64 v[224:225], s[0:1], v[208:209], v[154:155]
	v_fma_f64 v[154:155], v[182:183], s[18:19], -v[148:149]
	v_add_f64 v[228:229], v[154:155], v[216:217]
	v_mul_f64 v[154:155], v[170:171], s[26:27]
	v_fmac_f64_e32 v[148:149], s[18:19], v[182:183]
	v_add_f64 v[242:243], v[224:225], v[254:255]
	v_add_f64 v[224:225], v[148:149], v[220:221]
	v_fma_f64 v[148:149], v[208:209], s[18:19], -v[154:155]
	v_mul_f64 v[138:139], v[138:139], s[28:29]
	v_add_f64 v[226:227], v[148:149], v[222:223]
	v_fma_f64 v[148:149], v[182:183], s[2:3], -v[138:139]
	v_add_f64 v[220:221], v[148:149], v[156:157]
	v_mul_f64 v[148:149], v[170:171], s[28:29]
	v_fmac_f64_e32 v[138:139], s[2:3], v[182:183]
	v_fma_f64 v[212:213], s[18:19], v[208:209], v[154:155]
	v_add_f64 v[216:217], v[138:139], v[160:161]
	v_fma_f64 v[138:139], v[208:209], s[2:3], -v[148:149]
	v_add_f64 v[230:231], v[212:213], v[218:219]
	v_accvgpr_read_b32 v171, a59
	v_fma_f64 v[154:155], s[2:3], v[208:209], v[148:149]
	v_add_f64 v[218:219], v[138:139], v[164:165]
	v_accvgpr_read_b32 v165, a57
	v_accvgpr_read_b32 v170, a58
	v_add_f64 v[222:223], v[154:155], v[234:235]
	v_accvgpr_read_b32 v164, a56
	v_add_f64 v[234:235], v[158:159], -v[162:163]
	v_add_f64 v[154:155], v[164:165], v[170:171]
	v_add_f64 v[232:233], v[164:165], -v[170:171]
	v_mul_f64 v[148:149], v[234:235], s[26:27]
	v_add_f64 v[212:213], v[158:159], v[162:163]
	v_mul_f64 v[214:215], v[232:233], s[26:27]
	v_fma_f64 v[138:139], s[18:19], v[154:155], v[148:149]
	v_add_f64 v[252:253], v[138:139], v[176:177]
	v_fma_f64 v[138:139], v[212:213], s[18:19], -v[214:215]
	v_add_f64 v[254:255], v[138:139], v[188:189]
	v_mul_f64 v[138:139], v[234:235], s[30:31]
	v_fma_f64 v[156:157], v[154:155], s[0:1], -v[138:139]
	v_add_f64 v[248:249], v[156:157], v[248:249]
	v_mul_f64 v[156:157], v[232:233], s[30:31]
	v_fmac_f64_e32 v[138:139], s[0:1], v[154:155]
	v_add_f64 v[244:245], v[138:139], v[244:245]
	v_fma_f64 v[138:139], v[212:213], s[0:1], -v[156:157]
	v_add_f64 v[246:247], v[138:139], v[246:247]
	v_mul_f64 v[138:139], v[234:235], s[22:23]
	v_fma_f64 v[160:161], s[0:1], v[212:213], v[156:157]
	v_fma_f64 v[156:157], v[154:155], s[16:17], -v[138:139]
	v_add_f64 v[240:241], v[156:157], v[240:241]
	v_mul_f64 v[156:157], v[232:233], s[22:23]
	v_fmac_f64_e32 v[138:139], s[16:17], v[154:155]
	v_add_f64 v[236:237], v[138:139], v[236:237]
	v_fma_f64 v[138:139], v[212:213], s[16:17], -v[156:157]
	v_add_f64 v[238:239], v[138:139], v[238:239]
	v_mul_f64 v[138:139], v[234:235], s[28:29]
	v_add_f64 v[250:251], v[160:161], v[250:251]
	v_fma_f64 v[160:161], s[16:17], v[212:213], v[156:157]
	v_fma_f64 v[156:157], v[154:155], s[2:3], -v[138:139]
	v_add_f64 v[228:229], v[156:157], v[228:229]
	v_mul_f64 v[156:157], v[232:233], s[28:29]
	v_fmac_f64_e32 v[138:139], s[2:3], v[154:155]
	v_add_f64 v[224:225], v[138:139], v[224:225]
	v_fma_f64 v[138:139], v[212:213], s[2:3], -v[156:157]
	v_add_f64 v[226:227], v[138:139], v[226:227]
	v_mul_f64 v[138:139], v[234:235], s[20:21]
	v_add_f64 v[242:243], v[160:161], v[242:243]
	v_fma_f64 v[160:161], s[2:3], v[212:213], v[156:157]
	v_fma_f64 v[156:157], v[154:155], s[14:15], -v[138:139]
	v_add_f64 v[220:221], v[156:157], v[220:221]
	v_mul_f64 v[156:157], v[232:233], s[20:21]
	v_fmac_f64_e32 v[138:139], s[14:15], v[154:155]
	v_add_f64 v[216:217], v[138:139], v[216:217]
	v_fma_f64 v[138:139], v[212:213], s[14:15], -v[156:157]
	v_add_f64 v[218:219], v[138:139], v[218:219]
	v_accvgpr_read_b32 v138, a3
	v_mul_u32_u24_e32 v138, 0x4d, v138
	v_add_lshl_u32 v181, v138, v181, 4
	s_waitcnt lgkmcnt(0)
	; wave barrier
	ds_write_b128 v181, v[4:7]
	ds_write_b128 v181, v[44:47] offset:112
	ds_write_b128 v181, v[52:55] offset:224
	;; [unrolled: 1-line block ×10, first 2 shown]
	v_accvgpr_read_b32 v4, a0
	v_accvgpr_write_b32 a112, v216
	v_mul_u32_u24_e32 v4, 0x4d, v4
	v_accvgpr_read_b32 v5, a1
	v_add_f64 v[230:231], v[160:161], v[230:231]
	v_fma_f64 v[160:161], s[14:15], v[212:213], v[156:157]
	v_accvgpr_write_b32 a113, v217
	v_accvgpr_write_b32 a114, v218
	;; [unrolled: 1-line block ×3, first 2 shown]
	v_add_lshl_u32 v216, v4, v5, 4
	v_accvgpr_read_b32 v4, a2
	v_accvgpr_write_b32 a56, v252
	v_accvgpr_write_b32 a60, v248
	;; [unrolled: 1-line block ×7, first 2 shown]
	v_add_f64 v[222:223], v[160:161], v[222:223]
	v_accvgpr_write_b32 a100, v220
	v_mul_u32_u24_e32 v4, 0x4d, v4
	v_accvgpr_write_b32 a57, v253
	v_accvgpr_write_b32 a58, v254
	;; [unrolled: 1-line block ×24, first 2 shown]
	v_add_lshl_u32 v217, v4, v136, 4
	ds_write_b128 v216, v[84:87]
	ds_write_b128 v216, v[88:91] offset:112
	ds_write_b128 v216, v[96:99] offset:224
	;; [unrolled: 1-line block ×10, first 2 shown]
	ds_write_b128 v217, v[128:131]
	ds_write_b128 v217, v[8:11] offset:112
	ds_write_b128 v217, v[16:19] offset:224
	;; [unrolled: 1-line block ×10, first 2 shown]
	s_and_saveexec_b64 s[20:21], vcc
	s_cbranch_execz .LBB0_5
; %bb.4:
	v_mul_f64 v[4:5], v[194:195], s[0:1]
	v_mul_f64 v[8:9], v[200:201], s[2:3]
	v_add_f64 v[4:5], v[4:5], -v[186:187]
	v_add_f64 v[8:9], v[8:9], -v[178:179]
	v_add_f64 v[4:5], v[0:1], v[4:5]
	v_add_f64 v[4:5], v[8:9], v[4:5]
	v_accvgpr_read_b32 v9, a5
	v_accvgpr_read_b32 v8, a4
	v_add_f64 v[0:1], v[0:1], v[8:9]
	v_accvgpr_read_b32 v9, a7
	v_accvgpr_read_b32 v8, a6
	;; [unrolled: 3-line block ×4, first 2 shown]
	v_add_f64 v[0:1], v[0:1], v[8:9]
	v_add_f64 v[0:1], v[0:1], v[164:165]
	v_accvgpr_read_b32 v8, a90
	v_add_f64 v[0:1], v[0:1], v[170:171]
	v_accvgpr_read_b32 v9, a91
	;; [unrolled: 2-line block ×3, first 2 shown]
	v_accvgpr_read_b32 v9, a93
	v_add_f64 v[0:1], v[0:1], v[8:9]
	v_accvgpr_read_b32 v8, a94
	v_accvgpr_read_b32 v9, a95
	v_add_f64 v[0:1], v[0:1], v[8:9]
	v_accvgpr_read_b32 v8, a96
	v_accvgpr_read_b32 v9, a97
	v_add_f64 v[0:1], v[0:1], v[8:9]
	scratch_load_dword v8, off, off offset:232 ; 4-byte Folded Reload
	scratch_load_dword v9, off, off offset:476 ; 4-byte Folded Reload
	v_mul_f64 v[6:7], v[196:197], s[0:1]
	v_add_f64 v[6:7], v[192:193], v[6:7]
	v_add_f64 v[6:7], v[2:3], v[6:7]
	;; [unrolled: 1-line block ×7, first 2 shown]
	v_mul_f64 v[10:11], v[202:203], s[2:3]
	v_add_f64 v[2:3], v[2:3], v[162:163]
	v_mul_f64 v[12:13], v[144:145], s[14:15]
	v_mul_f64 v[14:15], v[204:205], s[14:15]
	v_add_f64 v[10:11], v[198:199], v[10:11]
	v_add_f64 v[2:3], v[2:3], v[166:167]
	v_mul_f64 v[16:17], v[182:183], s[16:17]
	v_mul_f64 v[18:19], v[208:209], s[16:17]
	v_add_f64 v[14:15], v[206:207], v[14:15]
	v_add_f64 v[6:7], v[10:11], v[6:7]
	v_add_f64 v[12:13], v[12:13], -v[140:141]
	v_add_f64 v[2:3], v[2:3], v[168:169]
	v_mul_f64 v[20:21], v[154:155], s[18:19]
	v_mul_f64 v[22:23], v[212:213], s[18:19]
	v_add_f64 v[18:19], v[210:211], v[18:19]
	v_add_f64 v[6:7], v[14:15], v[6:7]
	v_add_f64 v[14:15], v[16:17], -v[172:173]
	v_add_f64 v[4:5], v[12:13], v[4:5]
	v_add_f64 v[2:3], v[2:3], v[174:175]
	;; [unrolled: 1-line block ×4, first 2 shown]
	v_add_f64 v[10:11], v[20:21], -v[148:149]
	v_add_f64 v[4:5], v[14:15], v[4:5]
	v_add_f64 v[2:3], v[2:3], v[184:185]
	v_add_f64 v[6:7], v[22:23], v[6:7]
	v_add_f64 v[4:5], v[10:11], v[4:5]
	s_waitcnt vmcnt(1)
	v_mul_u32_u24_e32 v8, 0x4d, v8
	s_waitcnt vmcnt(0)
	v_add_lshl_u32 v8, v8, v9, 4
	ds_write_b128 v8, v[0:3]
	ds_write_b128 v8, v[4:7] offset:112
	ds_write_b128 v8, a[60:63] offset:224
	;; [unrolled: 1-line block ×10, first 2 shown]
.LBB0_5:
	s_or_b64 exec, exec, s[20:21]
	scratch_load_dwordx2 v[178:179], off, off ; 8-byte Folded Reload
	s_waitcnt lgkmcnt(0)
	; wave barrier
	s_waitcnt lgkmcnt(0)
	s_movk_i32 s14, 0xffea
	s_mov_b32 s15, -1
	v_accvgpr_read_b32 v182, a254
	v_accvgpr_read_b32 v183, a255
	;; [unrolled: 1-line block ×3, first 2 shown]
	s_mov_b64 s[2:3], 0x14a
	v_accvgpr_read_b32 v254, a64
	v_accvgpr_read_b32 v184, a144
	v_mov_b32_e32 v107, 6
	s_mov_b32 s17, 0xbfee6f0e
	s_mov_b32 s19, 0xbfe2cf23
	s_movk_i32 s22, 0x1000
	s_mov_b64 s[20:21], 0x17a0
	s_mov_b32 s23, 0xbfe77f67
	s_mov_b32 s25, 0x3fd5d0dc
	s_waitcnt vmcnt(0)
	v_lshlrev_b32_e32 v136, 4, v178
	v_lshl_add_u64 v[100:101], s[8:9], 0, v[136:137]
	v_lshlrev_b32_e32 v136, 6, v178
	global_load_dwordx4 v[120:123], v136, s[10:11] offset:1120
	global_load_dwordx4 v[116:119], v136, s[10:11] offset:1136
	;; [unrolled: 1-line block ×3, first 2 shown]
	ds_read_b128 v[28:31], v180 offset:6160
	ds_read_b128 v[24:27], v180 offset:12320
	;; [unrolled: 1-line block ×8, first 2 shown]
	global_load_dwordx4 v[128:131], v136, s[10:11] offset:1168
	v_cmp_gt_u16_e64 s[0:1], 22, v178
	v_lshl_add_u64 v[32:33], v[178:179], 0, s[14:15]
	v_lshl_add_u64 v[102:103], v[178:179], 0, s[2:3]
	v_cndmask_b32_e64 v135, v33, v183, s[0:1]
	v_cndmask_b32_e64 v134, v32, v182, s[0:1]
	v_lshlrev_b64 v[32:33], 6, v[134:135]
	v_lshl_add_u64 v[88:89], s[10:11], 0, v[32:33]
	global_load_dwordx4 v[124:127], v[88:89], off offset:1120
	ds_read_b128 v[84:87], v180 offset:7920
	ds_read_b128 v[76:79], v180 offset:14080
	;; [unrolled: 1-line block ×12, first 2 shown]
	global_load_dwordx4 v[146:149], v[88:89], off offset:1136
	ds_read_b128 v[32:35], v180 offset:10560
	ds_read_b128 v[36:39], v180 offset:16720
	global_load_dwordx4 v[196:199], v[88:89], off offset:1152
	global_load_dwordx4 v[192:195], v[88:89], off offset:1168
	s_movk_i32 s0, 0xd5
	v_mul_lo_u16_sdwa v90, v186, s0 dst_sel:DWORD dst_unused:UNUSED_PAD src0_sel:BYTE_0 src1_sel:DWORD
	v_lshrrev_b16_e32 v171, 14, v90
	v_mul_lo_u16_e32 v90, 0x4d, v171
	v_sub_u16_e32 v88, v186, v90
	v_and_b32_e32 v172, 0xff, v88
	v_lshlrev_b32_e32 v106, 6, v172
	v_mul_lo_u16_sdwa v103, v254, s0 dst_sel:DWORD dst_unused:UNUSED_PAD src0_sel:BYTE_0 src1_sel:DWORD
	s_mov_b64 s[8:9], 0x113
	global_load_dwordx4 v[174:177], v106, s[10:11] offset:1120
	v_lshrrev_b16_e32 v103, 14, v103
	ds_read_b128 v[88:91], v180 offset:22880
	ds_read_b128 v[92:95], v180 offset:29040
	;; [unrolled: 1-line block ×3, first 2 shown]
	global_load_dwordx4 v[200:203], v106, s[10:11] offset:1136
	global_load_dwordx4 v[188:191], v106, s[10:11] offset:1152
	s_movk_i32 s1, 0x1a99
	v_lshl_add_u64 v[104:105], v[178:179], 0, s[8:9]
	v_mul_lo_u16_e32 v103, 0x4d, v103
	v_sub_u16_e32 v170, v254, v103
	v_mul_u32_u24_sdwa v105, v184, s1 dst_sel:DWORD dst_unused:UNUSED_PAD src0_sel:WORD_0 src1_sel:DWORD
	global_load_dwordx4 v[250:253], v106, s[10:11] offset:1168
	v_lshlrev_b32_sdwa v103, v107, v170 dst_sel:DWORD dst_unused:UNUSED_PAD src0_sel:DWORD src1_sel:BYTE_0
	v_lshrrev_b32_e32 v168, 19, v105
	global_load_dwordx4 v[246:249], v103, s[10:11] offset:1120
	global_load_dwordx4 v[242:245], v103, s[10:11] offset:1136
	v_mul_lo_u16_e32 v105, 0x4d, v168
	v_sub_u16_e32 v169, v184, v105
	v_lshl_add_u64 v[106:107], s[10:11], 0, v[136:137]
	global_load_dwordx4 v[230:233], v103, s[10:11] offset:1168
	global_load_dwordx4 v[238:241], v103, s[10:11] offset:1152
	v_lshlrev_b16_e32 v136, 6, v169
	s_mov_b32 s2, 0x134454ff
	s_mov_b32 s3, 0x3fee6f0e
	;; [unrolled: 1-line block ×8, first 2 shown]
	s_waitcnt vmcnt(15) lgkmcnt(14)
	v_mul_f64 v[108:109], v[30:31], v[122:123]
	s_waitcnt vmcnt(14)
	v_mul_f64 v[110:111], v[26:27], v[118:119]
	v_fma_f64 v[158:159], v[24:25], v[116:117], -v[110:111]
	v_mul_f64 v[156:157], v[24:25], v[118:119]
	s_waitcnt vmcnt(13)
	v_mul_f64 v[24:25], v[22:23], v[114:115]
	v_fma_f64 v[162:163], v[20:21], v[112:113], -v[24:25]
	v_mul_f64 v[160:161], v[20:21], v[114:115]
	v_mul_u32_u24_sdwa v20, v104, s1 dst_sel:DWORD dst_unused:UNUSED_PAD src0_sel:WORD_0 src1_sel:DWORD
	v_mul_f64 v[152:153], v[28:29], v[122:123]
	v_fma_f64 v[154:155], v[28:29], v[120:121], -v[108:109]
	v_lshl_add_u64 v[28:29], s[10:11], 0, v[136:137]
	v_lshrrev_b32_e32 v105, 19, v20
	global_load_dwordx4 v[234:237], v[28:29], off offset:1120
	global_load_dwordx4 v[226:229], v[28:29], off offset:1136
	v_mul_lo_u16_e32 v20, 0x4d, v105
	v_sub_u16_e32 v135, v104, v20
	s_waitcnt vmcnt(14)
	v_mul_f64 v[164:165], v[16:17], v[130:131]
	v_lshlrev_b16_e32 v136, 6, v135
	v_fmac_f64_e32 v[160:161], v[22:23], v[112:113]
	v_mul_f64 v[22:23], v[18:19], v[130:131]
	v_fmac_f64_e32 v[164:165], v[18:19], v[128:129]
	v_mul_u32_u24_sdwa v18, v102, s1 dst_sel:DWORD dst_unused:UNUSED_PAD src0_sel:WORD_0 src1_sel:DWORD
	global_load_dwordx4 v[222:225], v[28:29], off offset:1152
	global_load_dwordx4 v[218:221], v[28:29], off offset:1168
	v_lshl_add_u64 v[20:21], s[10:11], 0, v[136:137]
	v_lshrrev_b32_e32 v18, 19, v18
	global_load_dwordx4 v[212:215], v[20:21], off offset:1120
	global_load_dwordx4 v[208:211], v[20:21], off offset:1136
	v_mul_lo_u16_e32 v18, 0x4d, v18
	v_sub_u16_e32 v103, v102, v18
	v_lshlrev_b16_e32 v136, 6, v103
	v_fma_f64 v[166:167], v[16:17], v[128:129], -v[22:23]
	global_load_dwordx4 v[204:207], v[20:21], off offset:1152
	s_nop 0
	global_load_dwordx4 v[20:23], v[20:21], off offset:1168
	v_lshl_add_u64 v[18:19], s[10:11], 0, v[136:137]
	v_fmac_f64_e32 v[156:157], v[26:27], v[116:117]
	global_load_dwordx4 v[24:27], v[18:19], off offset:1120
	s_waitcnt vmcnt(20)
	v_mul_f64 v[16:17], v[10:11], v[126:127]
	v_fma_f64 v[138:139], v[8:9], v[124:125], -v[16:17]
	v_mul_f64 v[28:29], v[8:9], v[126:127]
	s_waitcnt vmcnt(19)
	v_mul_f64 v[8:9], v[14:15], v[148:149]
	v_fma_f64 v[144:145], v[12:13], v[146:147], -v[8:9]
	v_mul_f64 v[140:141], v[12:13], v[148:149]
	v_accvgpr_write_b32 a116, v146
	s_waitcnt vmcnt(18)
	v_mul_f64 v[8:9], v[6:7], v[198:199]
	v_mul_f64 v[142:143], v[4:5], v[198:199]
	v_accvgpr_write_b32 a117, v147
	v_accvgpr_write_b32 a118, v148
	;; [unrolled: 1-line block ×3, first 2 shown]
	v_fmac_f64_e32 v[140:141], v[14:15], v[146:147]
	v_fma_f64 v[146:147], v[4:5], v[196:197], -v[8:9]
	v_fmac_f64_e32 v[142:143], v[6:7], v[196:197]
	global_load_dwordx4 v[6:9], v[18:19], off offset:1136
	s_waitcnt vmcnt(18)
	v_mul_f64 v[4:5], v[2:3], v[194:195]
	v_accvgpr_write_b32 a104, v124
	v_fma_f64 v[150:151], v[0:1], v[192:193], -v[4:5]
	v_mul_f64 v[148:149], v[0:1], v[194:195]
	s_waitcnt vmcnt(17)
	v_mul_f64 v[0:1], v[86:87], v[176:177]
	v_accvgpr_write_b32 a108, v128
	v_accvgpr_write_b32 a105, v125
	;; [unrolled: 1-line block ×4, first 2 shown]
	v_fma_f64 v[126:127], v[84:85], v[174:175], -v[0:1]
	s_waitcnt vmcnt(16)
	v_mul_f64 v[0:1], v[78:79], v[202:203]
	v_accvgpr_write_b32 a109, v129
	v_accvgpr_write_b32 a110, v130
	;; [unrolled: 1-line block ×3, first 2 shown]
	v_fma_f64 v[128:129], v[76:77], v[200:201], -v[0:1]
	s_waitcnt vmcnt(15)
	v_mul_f64 v[0:1], v[74:75], v[190:191]
	v_fma_f64 v[130:131], v[72:73], v[188:189], -v[0:1]
	s_waitcnt vmcnt(14) lgkmcnt(13)
	v_mul_f64 v[0:1], v[62:63], v[252:253]
	v_accvgpr_write_b32 a88, v112
	v_fma_f64 v[132:133], v[60:61], v[250:251], -v[0:1]
	s_waitcnt vmcnt(13) lgkmcnt(12)
	v_mul_f64 v[0:1], v[54:55], v[248:249]
	v_accvgpr_write_b32 a89, v113
	v_accvgpr_write_b32 a90, v114
	;; [unrolled: 1-line block ×3, first 2 shown]
	v_fma_f64 v[112:113], v[52:53], v[246:247], -v[0:1]
	s_waitcnt vmcnt(12) lgkmcnt(11)
	v_mul_f64 v[0:1], v[82:83], v[244:245]
	v_accvgpr_write_b32 a92, v116
	v_fma_f64 v[114:115], v[80:81], v[242:243], -v[0:1]
	s_waitcnt vmcnt(10) lgkmcnt(10)
	v_mul_f64 v[0:1], v[70:71], v[240:241]
	v_accvgpr_write_b32 a93, v117
	v_accvgpr_write_b32 a94, v118
	;; [unrolled: 1-line block ×3, first 2 shown]
	v_fma_f64 v[116:117], v[68:69], v[238:239], -v[0:1]
	s_waitcnt lgkmcnt(9)
	v_mul_f64 v[0:1], v[66:67], v[232:233]
	v_accvgpr_write_b32 a96, v120
	v_fma_f64 v[118:119], v[64:65], v[230:231], -v[0:1]
	v_accvgpr_write_b32 a97, v121
	v_accvgpr_write_b32 a98, v122
	;; [unrolled: 1-line block ×3, first 2 shown]
	v_fmac_f64_e32 v[152:153], v[30:31], v[120:121]
	v_mul_f64 v[120:121], v[76:77], v[202:203]
	s_waitcnt vmcnt(9) lgkmcnt(8)
	v_mul_f64 v[0:1], v[58:59], v[236:237]
	v_fma_f64 v[76:77], v[56:57], v[234:235], -v[0:1]
	s_waitcnt vmcnt(8) lgkmcnt(7)
	v_mul_f64 v[0:1], v[50:51], v[228:229]
	v_mul_f64 v[30:31], v[84:85], v[176:177]
	v_fmac_f64_e32 v[120:121], v[78:79], v[200:201]
	v_fma_f64 v[78:79], v[48:49], v[226:227], -v[0:1]
	v_fmac_f64_e32 v[30:31], v[86:87], v[174:175]
	v_mul_f64 v[86:87], v[80:81], v[244:245]
	v_fmac_f64_e32 v[86:87], v[82:83], v[242:243]
	s_waitcnt vmcnt(7) lgkmcnt(6)
	v_mul_f64 v[0:1], v[46:47], v[224:225]
	v_fma_f64 v[80:81], v[44:45], v[222:223], -v[0:1]
	s_waitcnt vmcnt(6) lgkmcnt(5)
	v_mul_f64 v[0:1], v[42:43], v[220:221]
	v_fma_f64 v[82:83], v[40:41], v[218:219], -v[0:1]
	s_waitcnt vmcnt(5) lgkmcnt(4)
	v_mul_f64 v[0:1], v[34:35], v[214:215]
	v_fmac_f64_e32 v[28:29], v[10:11], v[124:125]
	v_mul_f64 v[124:125], v[60:61], v[252:253]
	v_fma_f64 v[60:61], v[32:33], v[212:213], -v[0:1]
	s_waitcnt vmcnt(4) lgkmcnt(3)
	v_mul_f64 v[0:1], v[38:39], v[210:211]
	v_fmac_f64_e32 v[124:125], v[62:63], v[250:251]
	;; [unrolled: 5-line block ×3, first 2 shown]
	v_mul_f64 v[110:111], v[64:65], v[232:233]
	v_mul_f64 v[70:71], v[48:49], v[228:229]
	v_fma_f64 v[64:65], v[88:89], v[204:205], -v[0:1]
	s_waitcnt vmcnt(2) lgkmcnt(1)
	v_mul_f64 v[0:1], v[94:95], v[22:23]
	v_fmac_f64_e32 v[110:111], v[66:67], v[230:231]
	v_fmac_f64_e32 v[70:71], v[50:51], v[226:227]
	v_mul_f64 v[50:51], v[36:37], v[210:211]
	v_fma_f64 v[66:67], v[92:93], v[20:21], -v[0:1]
	s_waitcnt vmcnt(1) lgkmcnt(0)
	v_mul_f64 v[0:1], v[98:99], v[26:27]
	v_fmac_f64_e32 v[148:149], v[2:3], v[192:193]
	v_fmac_f64_e32 v[50:51], v[38:39], v[208:209]
	v_fma_f64 v[38:39], v[96:97], v[24:25], -v[0:1]
	ds_read_b128 v[0:3], v180 offset:17600
	v_mul_f64 v[84:85], v[52:53], v[248:249]
	v_fmac_f64_e32 v[84:85], v[54:55], v[246:247]
	v_mul_f64 v[48:49], v[32:33], v[214:215]
	v_mul_f64 v[54:55], v[92:93], v[22:23]
	v_accvgpr_write_b32 a135, v23
	v_mul_f64 v[122:123], v[72:73], v[190:191]
	v_fmac_f64_e32 v[48:49], v[34:35], v[212:213]
	v_accvgpr_write_b32 a134, v22
	v_accvgpr_write_b32 a133, v21
	;; [unrolled: 1-line block ×3, first 2 shown]
	v_fmac_f64_e32 v[54:55], v[94:95], v[20:21]
	ds_read_b128 v[20:23], v180
	s_waitcnt vmcnt(0) lgkmcnt(1)
	v_mul_f64 v[4:5], v[2:3], v[8:9]
	v_mul_f64 v[34:35], v[0:1], v[8:9]
	v_accvgpr_write_b32 a201, v9
	v_fmac_f64_e32 v[122:123], v[74:75], v[188:189]
	v_mul_f64 v[74:75], v[40:41], v[220:221]
	v_fma_f64 v[40:41], v[0:1], v[6:7], -v[4:5]
	v_accvgpr_write_b32 a200, v8
	v_accvgpr_write_b32 a199, v7
	;; [unrolled: 1-line block ×3, first 2 shown]
	v_fmac_f64_e32 v[34:35], v[2:3], v[6:7]
	global_load_dwordx4 v[6:9], v[18:19], off offset:1152
	ds_read_b128 v[0:3], v180 offset:23760
	v_mul_f64 v[72:73], v[44:45], v[224:225]
	v_fmac_f64_e32 v[74:75], v[42:43], v[218:219]
	v_fmac_f64_e32 v[72:73], v[46:47], v[222:223]
	v_mul_f64 v[32:33], v[96:97], v[26:27]
	v_accvgpr_write_b32 a139, v27
	v_mul_f64 v[68:69], v[56:57], v[236:237]
	v_accvgpr_write_b32 a138, v26
	v_accvgpr_write_b32 a137, v25
	;; [unrolled: 1-line block ×3, first 2 shown]
	v_fmac_f64_e32 v[32:33], v[98:99], v[24:25]
	v_fmac_f64_e32 v[68:69], v[58:59], v[234:235]
	v_accvgpr_write_b32 a64, v174
	v_mul_f64 v[52:53], v[88:89], v[206:207]
	v_accvgpr_write_b32 a65, v175
	v_accvgpr_write_b32 a66, v176
	;; [unrolled: 1-line block ×3, first 2 shown]
	v_fmac_f64_e32 v[52:53], v[90:91], v[204:205]
	v_add_f64 v[88:89], v[152:153], -v[156:157]
	v_add_f64 v[90:91], v[164:165], -v[160:161]
	;; [unrolled: 1-line block ×4, first 2 shown]
	v_add_f64 v[94:95], v[88:89], v[90:91]
	v_add_f64 v[98:99], v[156:157], -v[160:161]
	v_add_f64 v[176:177], v[158:159], -v[162:163]
	v_cmp_lt_u16_e64 s[0:1], 21, v178
	v_lshlrev_b32_e32 v136, 6, v182
	v_accvgpr_write_b32 a158, v222
	v_accvgpr_write_b32 a154, v218
	;; [unrolled: 1-line block ×52, first 2 shown]
	s_waitcnt vmcnt(0) lgkmcnt(0)
	v_mul_f64 v[4:5], v[2:3], v[8:9]
	v_mul_f64 v[36:37], v[0:1], v[8:9]
	v_accvgpr_write_b32 a213, v9
	v_fma_f64 v[44:45], v[0:1], v[6:7], -v[4:5]
	v_accvgpr_write_b32 a212, v8
	v_accvgpr_write_b32 a211, v7
	;; [unrolled: 1-line block ×3, first 2 shown]
	v_fmac_f64_e32 v[36:37], v[2:3], v[6:7]
	global_load_dwordx4 v[6:9], v[18:19], off offset:1168
	ds_read_b128 v[0:3], v180 offset:29920
	v_accvgpr_write_b32 a125, v197
	v_accvgpr_write_b32 a126, v198
	;; [unrolled: 1-line block ×12, first 2 shown]
	s_waitcnt vmcnt(0) lgkmcnt(0)
	v_mul_f64 v[4:5], v[2:3], v[8:9]
	v_mul_f64 v[42:43], v[0:1], v[8:9]
	v_fma_f64 v[46:47], v[0:1], v[6:7], -v[4:5]
	v_fmac_f64_e32 v[42:43], v[2:3], v[6:7]
	v_add_f64 v[0:1], v[20:21], v[154:155]
	v_add_f64 v[2:3], v[22:23], v[152:153]
	v_add_f64 v[0:1], v[0:1], v[158:159]
	v_add_f64 v[2:3], v[2:3], v[156:157]
	v_add_f64 v[0:1], v[0:1], v[162:163]
	v_add_f64 v[2:3], v[2:3], v[160:161]
	v_accvgpr_write_b32 a197, v9
	v_add_f64 v[24:25], v[0:1], v[166:167]
	v_add_f64 v[26:27], v[2:3], v[164:165]
	v_accvgpr_write_b32 a196, v8
	v_accvgpr_write_b32 a195, v7
	;; [unrolled: 1-line block ×3, first 2 shown]
	ds_read_b128 v[16:19], v180 offset:880
	ds_read_b128 v[56:59], v180 offset:1760
	;; [unrolled: 1-line block ×6, first 2 shown]
	s_waitcnt lgkmcnt(0)
	; wave barrier
	s_waitcnt lgkmcnt(0)
	ds_write_b128 v180, v[24:27]
	v_add_f64 v[24:25], v[154:155], -v[158:159]
	v_add_f64 v[26:27], v[166:167], -v[162:163]
	v_add_f64 v[92:93], v[24:25], v[26:27]
	v_add_f64 v[24:25], v[158:159], v[162:163]
	;; [unrolled: 1-line block ×3, first 2 shown]
	v_fma_f64 v[24:25], -0.5, v[24:25], v[20:21]
	v_fma_f64 v[26:27], -0.5, v[26:27], v[22:23]
	v_fma_f64 v[88:89], s[2:3], v[96:97], v[24:25]
	v_fma_f64 v[90:91], s[16:17], v[174:175], v[26:27]
	v_fmac_f64_e32 v[88:89], s[8:9], v[98:99]
	v_fmac_f64_e32 v[90:91], s[18:19], v[176:177]
	;; [unrolled: 1-line block ×4, first 2 shown]
	ds_write_b128 v180, v[88:91] offset:1232
	v_add_f64 v[88:89], v[154:155], v[166:167]
	v_fmac_f64_e32 v[20:21], -0.5, v[88:89]
	v_add_f64 v[88:89], v[158:159], -v[154:155]
	v_add_f64 v[90:91], v[162:163], -v[166:167]
	v_add_f64 v[154:155], v[88:89], v[90:91]
	v_add_f64 v[88:89], v[152:153], v[164:165]
	v_fmac_f64_e32 v[22:23], -0.5, v[88:89]
	v_add_f64 v[88:89], v[156:157], -v[152:153]
	v_add_f64 v[90:91], v[160:161], -v[164:165]
	v_add_f64 v[152:153], v[88:89], v[90:91]
	v_fma_f64 v[88:89], s[16:17], v[98:99], v[20:21]
	v_fma_f64 v[90:91], s[2:3], v[176:177], v[22:23]
	v_fmac_f64_e32 v[20:21], s[2:3], v[98:99]
	v_fmac_f64_e32 v[22:23], s[16:17], v[176:177]
	;; [unrolled: 1-line block ×10, first 2 shown]
	ds_write_b128 v180, v[20:23] offset:3696
	v_fmac_f64_e32 v[24:25], s[14:15], v[92:93]
	v_fmac_f64_e32 v[26:27], s[14:15], v[94:95]
	v_add_f64 v[20:21], v[16:17], v[138:139]
	v_add_f64 v[22:23], v[18:19], v[28:29]
	ds_write_b128 v180, v[24:27] offset:4928
	v_add_f64 v[20:21], v[20:21], v[144:145]
	v_add_f64 v[22:23], v[22:23], v[140:141]
	v_mov_b32_e32 v24, 0x181
	v_fmac_f64_e32 v[88:89], s[8:9], v[96:97]
	v_fmac_f64_e32 v[90:91], s[18:19], v[174:175]
	v_add_f64 v[20:21], v[20:21], v[146:147]
	v_add_f64 v[22:23], v[22:23], v[142:143]
	v_cndmask_b32_e64 v24, 0, v24, s[0:1]
	v_fmac_f64_e32 v[88:89], s[14:15], v[154:155]
	v_fmac_f64_e32 v[90:91], s[14:15], v[152:153]
	v_add_f64 v[20:21], v[20:21], v[150:151]
	v_add_f64 v[22:23], v[22:23], v[148:149]
	v_add_lshl_u32 v134, v134, v24, 4
	ds_write_b128 v180, v[88:91] offset:2464
	ds_write_b128 v134, v[20:23]
	v_add_f64 v[20:21], v[138:139], -v[144:145]
	v_add_f64 v[22:23], v[150:151], -v[146:147]
	v_add_f64 v[88:89], v[20:21], v[22:23]
	v_add_f64 v[20:21], v[144:145], v[146:147]
	;; [unrolled: 1-line block ×3, first 2 shown]
	v_fma_f64 v[20:21], -0.5, v[20:21], v[16:17]
	v_fma_f64 v[22:23], -0.5, v[22:23], v[18:19]
	v_add_f64 v[24:25], v[28:29], -v[140:141]
	v_add_f64 v[26:27], v[148:149], -v[142:143]
	;; [unrolled: 1-line block ×4, first 2 shown]
	v_add_f64 v[90:91], v[24:25], v[26:27]
	v_add_f64 v[94:95], v[140:141], -v[142:143]
	v_fma_f64 v[24:25], s[2:3], v[92:93], v[20:21]
	v_fma_f64 v[26:27], s[16:17], v[96:97], v[22:23]
	v_add_f64 v[98:99], v[144:145], -v[146:147]
	v_fmac_f64_e32 v[24:25], s[8:9], v[94:95]
	v_fmac_f64_e32 v[26:27], s[18:19], v[98:99]
	;; [unrolled: 1-line block ×4, first 2 shown]
	ds_write_b128 v134, v[24:27] offset:1232
	v_add_f64 v[24:25], v[138:139], v[150:151]
	v_fmac_f64_e32 v[16:17], -0.5, v[24:25]
	v_add_f64 v[24:25], v[144:145], -v[138:139]
	v_add_f64 v[26:27], v[146:147], -v[150:151]
	v_add_f64 v[138:139], v[24:25], v[26:27]
	v_add_f64 v[24:25], v[28:29], v[148:149]
	v_fmac_f64_e32 v[18:19], -0.5, v[24:25]
	v_add_f64 v[24:25], v[140:141], -v[28:29]
	v_add_f64 v[26:27], v[142:143], -v[148:149]
	v_add_f64 v[28:29], v[24:25], v[26:27]
	v_fma_f64 v[24:25], s[16:17], v[94:95], v[16:17]
	v_fma_f64 v[26:27], s[2:3], v[98:99], v[18:19]
	v_fmac_f64_e32 v[16:17], s[2:3], v[94:95]
	v_fmac_f64_e32 v[18:19], s[16:17], v[98:99]
	;; [unrolled: 1-line block ×8, first 2 shown]
	ds_write_b128 v134, v[16:19] offset:3696
	v_fmac_f64_e32 v[20:21], s[18:19], v[94:95]
	v_fmac_f64_e32 v[22:23], s[8:9], v[98:99]
	v_add_f64 v[16:17], v[56:57], v[126:127]
	v_add_f64 v[18:19], v[58:59], v[30:31]
	v_fmac_f64_e32 v[24:25], s[8:9], v[92:93]
	v_fmac_f64_e32 v[26:27], s[18:19], v[96:97]
	;; [unrolled: 1-line block ×4, first 2 shown]
	v_add_f64 v[16:17], v[16:17], v[128:129]
	v_add_f64 v[18:19], v[18:19], v[120:121]
	v_fmac_f64_e32 v[24:25], s[14:15], v[138:139]
	v_fmac_f64_e32 v[26:27], s[14:15], v[28:29]
	ds_write_b128 v134, v[20:23] offset:4928
	v_add_f64 v[16:17], v[16:17], v[130:131]
	v_add_f64 v[18:19], v[18:19], v[122:123]
	v_mul_u32_u24_e32 v20, 0x181, v171
	ds_write_b128 v134, v[24:27] offset:2464
	v_accvgpr_write_b32 a230, v134
	v_add_f64 v[16:17], v[16:17], v[132:133]
	v_add_f64 v[18:19], v[18:19], v[124:125]
	v_add_lshl_u32 v134, v20, v172, 4
	ds_write_b128 v134, v[16:19]
	v_add_f64 v[16:17], v[126:127], -v[128:129]
	v_add_f64 v[18:19], v[132:133], -v[130:131]
	v_add_f64 v[18:19], v[16:17], v[18:19]
	v_add_f64 v[16:17], v[128:129], v[130:131]
	v_fma_f64 v[16:17], -0.5, v[16:17], v[56:57]
	v_add_f64 v[22:23], v[30:31], -v[124:125]
	v_add_f64 v[24:25], v[120:121], -v[122:123]
	v_fma_f64 v[20:21], s[2:3], v[22:23], v[16:17]
	v_fmac_f64_e32 v[16:17], s[16:17], v[22:23]
	v_fmac_f64_e32 v[20:21], s[8:9], v[24:25]
	;; [unrolled: 1-line block ×5, first 2 shown]
	v_add_f64 v[18:19], v[126:127], v[132:133]
	v_fmac_f64_e32 v[56:57], -0.5, v[18:19]
	v_add_f64 v[18:19], v[128:129], -v[126:127]
	v_add_f64 v[26:27], v[130:131], -v[132:133]
	v_fma_f64 v[28:29], s[16:17], v[24:25], v[56:57]
	v_fmac_f64_e32 v[56:57], s[2:3], v[24:25]
	v_add_f64 v[18:19], v[18:19], v[26:27]
	v_fmac_f64_e32 v[28:29], s[8:9], v[22:23]
	v_fmac_f64_e32 v[56:57], s[18:19], v[22:23]
	v_fmac_f64_e32 v[28:29], s[14:15], v[18:19]
	v_fmac_f64_e32 v[56:57], s[14:15], v[18:19]
	v_add_f64 v[18:19], v[120:121], v[122:123]
	v_fma_f64 v[18:19], -0.5, v[18:19], v[58:59]
	v_add_f64 v[24:25], v[126:127], -v[132:133]
	v_add_f64 v[22:23], v[30:31], -v[120:121]
	;; [unrolled: 1-line block ×4, first 2 shown]
	v_add_f64 v[88:89], v[22:23], v[88:89]
	v_fma_f64 v[22:23], s[16:17], v[24:25], v[18:19]
	v_fmac_f64_e32 v[18:19], s[2:3], v[24:25]
	v_fmac_f64_e32 v[22:23], s[18:19], v[26:27]
	;; [unrolled: 1-line block ×5, first 2 shown]
	v_add_f64 v[88:89], v[30:31], v[124:125]
	v_fmac_f64_e32 v[58:59], -0.5, v[88:89]
	v_add_f64 v[30:31], v[120:121], -v[30:31]
	v_add_f64 v[88:89], v[122:123], -v[124:125]
	v_add_f64 v[88:89], v[30:31], v[88:89]
	v_fma_f64 v[30:31], s[2:3], v[26:27], v[58:59]
	v_fmac_f64_e32 v[58:59], s[16:17], v[26:27]
	v_fmac_f64_e32 v[30:31], s[18:19], v[24:25]
	;; [unrolled: 1-line block ×3, first 2 shown]
	v_add_f64 v[24:25], v[112:113], -v[114:115]
	v_add_f64 v[26:27], v[118:119], -v[116:117]
	v_add_f64 v[26:27], v[24:25], v[26:27]
	v_add_f64 v[24:25], v[114:115], v[116:117]
	v_fma_f64 v[24:25], -0.5, v[24:25], v[8:9]
	v_add_f64 v[90:91], v[84:85], -v[110:111]
	v_fmac_f64_e32 v[30:31], s[14:15], v[88:89]
	v_fmac_f64_e32 v[58:59], s[14:15], v[88:89]
	v_add_f64 v[94:95], v[86:87], -v[108:109]
	v_fma_f64 v[88:89], s[2:3], v[90:91], v[24:25]
	v_fmac_f64_e32 v[24:25], s[16:17], v[90:91]
	v_fmac_f64_e32 v[88:89], s[8:9], v[94:95]
	v_fmac_f64_e32 v[24:25], s[18:19], v[94:95]
	v_add_f64 v[92:93], v[112:113], v[118:119]
	v_fmac_f64_e32 v[88:89], s[14:15], v[26:27]
	v_fmac_f64_e32 v[24:25], s[14:15], v[26:27]
	v_add_f64 v[26:27], v[8:9], v[112:113]
	v_fmac_f64_e32 v[8:9], -0.5, v[92:93]
	v_add_f64 v[92:93], v[114:115], -v[112:113]
	v_add_f64 v[96:97], v[116:117], -v[118:119]
	v_add_f64 v[96:97], v[92:93], v[96:97]
	v_fma_f64 v[92:93], s[16:17], v[94:95], v[8:9]
	v_fmac_f64_e32 v[8:9], s[2:3], v[94:95]
	v_fmac_f64_e32 v[92:93], s[8:9], v[90:91]
	;; [unrolled: 1-line block ×3, first 2 shown]
	v_add_f64 v[26:27], v[26:27], v[114:115]
	v_add_f64 v[90:91], v[10:11], v[84:85]
	;; [unrolled: 1-line block ×4, first 2 shown]
	v_fmac_f64_e32 v[92:93], s[14:15], v[96:97]
	v_fmac_f64_e32 v[8:9], s[14:15], v[96:97]
	v_add_f64 v[90:91], v[90:91], v[108:109]
	v_add_f64 v[96:97], v[26:27], v[118:119]
	;; [unrolled: 1-line block ×4, first 2 shown]
	v_fma_f64 v[26:27], -0.5, v[26:27], v[10:11]
	v_add_f64 v[112:113], v[112:113], -v[118:119]
	v_add_f64 v[90:91], v[84:85], -v[86:87]
	;; [unrolled: 1-line block ×4, first 2 shown]
	v_add_f64 v[94:95], v[90:91], v[94:95]
	v_fma_f64 v[90:91], s[16:17], v[112:113], v[26:27]
	v_fmac_f64_e32 v[26:27], s[2:3], v[112:113]
	v_fmac_f64_e32 v[90:91], s[18:19], v[114:115]
	;; [unrolled: 1-line block ×5, first 2 shown]
	v_add_f64 v[94:95], v[84:85], v[110:111]
	v_fmac_f64_e32 v[10:11], -0.5, v[94:95]
	v_add_f64 v[84:85], v[86:87], -v[84:85]
	v_add_f64 v[86:87], v[108:109], -v[110:111]
	v_fma_f64 v[94:95], s[2:3], v[114:115], v[10:11]
	v_fmac_f64_e32 v[10:11], s[16:17], v[114:115]
	v_add_f64 v[84:85], v[84:85], v[86:87]
	v_fmac_f64_e32 v[94:95], s[18:19], v[112:113]
	v_fmac_f64_e32 v[10:11], s[8:9], v[112:113]
	;; [unrolled: 1-line block ×4, first 2 shown]
	v_add_f64 v[84:85], v[76:77], -v[78:79]
	v_add_f64 v[86:87], v[82:83], -v[80:81]
	v_add_f64 v[86:87], v[84:85], v[86:87]
	v_add_f64 v[84:85], v[78:79], v[80:81]
	v_fma_f64 v[84:85], -0.5, v[84:85], v[4:5]
	v_add_f64 v[110:111], v[68:69], -v[74:75]
	v_add_f64 v[114:115], v[70:71], -v[72:73]
	v_fma_f64 v[108:109], s[2:3], v[110:111], v[84:85]
	v_fmac_f64_e32 v[84:85], s[16:17], v[110:111]
	v_fmac_f64_e32 v[108:109], s[8:9], v[114:115]
	v_fmac_f64_e32 v[84:85], s[18:19], v[114:115]
	v_add_f64 v[112:113], v[76:77], v[82:83]
	v_fmac_f64_e32 v[108:109], s[14:15], v[86:87]
	v_fmac_f64_e32 v[84:85], s[14:15], v[86:87]
	v_add_f64 v[86:87], v[4:5], v[76:77]
	v_fmac_f64_e32 v[4:5], -0.5, v[112:113]
	v_add_f64 v[112:113], v[78:79], -v[76:77]
	v_add_f64 v[116:117], v[80:81], -v[82:83]
	v_add_f64 v[116:117], v[112:113], v[116:117]
	v_fma_f64 v[112:113], s[16:17], v[114:115], v[4:5]
	v_fmac_f64_e32 v[4:5], s[2:3], v[114:115]
	v_add_f64 v[86:87], v[86:87], v[78:79]
	v_fmac_f64_e32 v[112:113], s[8:9], v[110:111]
	v_fmac_f64_e32 v[4:5], s[18:19], v[110:111]
	v_add_f64 v[86:87], v[86:87], v[80:81]
	v_add_f64 v[110:111], v[6:7], v[68:69]
	v_fmac_f64_e32 v[112:113], s[14:15], v[116:117]
	v_fmac_f64_e32 v[4:5], s[14:15], v[116:117]
	v_add_f64 v[110:111], v[110:111], v[70:71]
	v_add_f64 v[116:117], v[86:87], v[82:83]
	v_add_f64 v[86:87], v[70:71], v[72:73]
	v_add_f64 v[110:111], v[110:111], v[72:73]
	v_fma_f64 v[86:87], -0.5, v[86:87], v[6:7]
	v_add_f64 v[76:77], v[76:77], -v[82:83]
	v_add_f64 v[118:119], v[110:111], v[74:75]
	v_add_f64 v[78:79], v[78:79], -v[80:81]
	v_add_f64 v[80:81], v[68:69], -v[70:71]
	;; [unrolled: 1-line block ×3, first 2 shown]
	v_fma_f64 v[110:111], s[16:17], v[76:77], v[86:87]
	v_fmac_f64_e32 v[86:87], s[2:3], v[76:77]
	v_add_f64 v[80:81], v[80:81], v[82:83]
	v_fmac_f64_e32 v[110:111], s[18:19], v[78:79]
	v_fmac_f64_e32 v[86:87], s[8:9], v[78:79]
	;; [unrolled: 1-line block ×4, first 2 shown]
	v_add_f64 v[80:81], v[68:69], v[74:75]
	v_fmac_f64_e32 v[6:7], -0.5, v[80:81]
	v_add_f64 v[68:69], v[70:71], -v[68:69]
	v_add_f64 v[70:71], v[72:73], -v[74:75]
	v_fma_f64 v[114:115], s[2:3], v[78:79], v[6:7]
	v_fmac_f64_e32 v[6:7], s[16:17], v[78:79]
	v_add_f64 v[68:69], v[68:69], v[70:71]
	v_fmac_f64_e32 v[114:115], s[18:19], v[76:77]
	v_fmac_f64_e32 v[6:7], s[8:9], v[76:77]
	;; [unrolled: 1-line block ×4, first 2 shown]
	v_add_f64 v[68:69], v[60:61], -v[62:63]
	v_add_f64 v[70:71], v[66:67], -v[64:65]
	v_add_f64 v[70:71], v[68:69], v[70:71]
	v_add_f64 v[68:69], v[62:63], v[64:65]
	v_fma_f64 v[68:69], -0.5, v[68:69], v[0:1]
	v_add_f64 v[74:75], v[48:49], -v[54:55]
	v_add_f64 v[78:79], v[50:51], -v[52:53]
	v_fma_f64 v[72:73], s[2:3], v[74:75], v[68:69]
	v_fmac_f64_e32 v[68:69], s[16:17], v[74:75]
	v_fmac_f64_e32 v[72:73], s[8:9], v[78:79]
	;; [unrolled: 1-line block ×3, first 2 shown]
	v_add_f64 v[76:77], v[60:61], v[66:67]
	v_fmac_f64_e32 v[72:73], s[14:15], v[70:71]
	v_fmac_f64_e32 v[68:69], s[14:15], v[70:71]
	v_add_f64 v[70:71], v[0:1], v[60:61]
	v_fmac_f64_e32 v[0:1], -0.5, v[76:77]
	v_add_f64 v[76:77], v[62:63], -v[60:61]
	v_add_f64 v[80:81], v[64:65], -v[66:67]
	v_add_f64 v[80:81], v[76:77], v[80:81]
	v_fma_f64 v[76:77], s[16:17], v[78:79], v[0:1]
	v_fmac_f64_e32 v[0:1], s[2:3], v[78:79]
	v_add_f64 v[70:71], v[70:71], v[62:63]
	v_fmac_f64_e32 v[76:77], s[8:9], v[74:75]
	v_fmac_f64_e32 v[0:1], s[18:19], v[74:75]
	v_add_f64 v[70:71], v[70:71], v[64:65]
	v_add_f64 v[74:75], v[2:3], v[48:49]
	v_fmac_f64_e32 v[76:77], s[14:15], v[80:81]
	v_fmac_f64_e32 v[0:1], s[14:15], v[80:81]
	v_add_f64 v[74:75], v[74:75], v[50:51]
	v_add_f64 v[80:81], v[70:71], v[66:67]
	;; [unrolled: 1-line block ×4, first 2 shown]
	v_fma_f64 v[70:71], -0.5, v[70:71], v[2:3]
	v_add_f64 v[60:61], v[60:61], -v[66:67]
	v_add_f64 v[82:83], v[74:75], v[54:55]
	v_add_f64 v[62:63], v[62:63], -v[64:65]
	v_add_f64 v[64:65], v[48:49], -v[50:51]
	;; [unrolled: 1-line block ×3, first 2 shown]
	v_fma_f64 v[74:75], s[16:17], v[60:61], v[70:71]
	v_fmac_f64_e32 v[70:71], s[2:3], v[60:61]
	v_add_f64 v[64:65], v[64:65], v[66:67]
	v_fmac_f64_e32 v[74:75], s[18:19], v[62:63]
	v_fmac_f64_e32 v[70:71], s[8:9], v[62:63]
	;; [unrolled: 1-line block ×4, first 2 shown]
	v_add_f64 v[64:65], v[48:49], v[54:55]
	v_fmac_f64_e32 v[2:3], -0.5, v[64:65]
	v_add_f64 v[48:49], v[50:51], -v[48:49]
	v_add_f64 v[50:51], v[52:53], -v[54:55]
	v_fma_f64 v[78:79], s[2:3], v[62:63], v[2:3]
	v_fmac_f64_e32 v[2:3], s[16:17], v[62:63]
	v_add_f64 v[48:49], v[48:49], v[50:51]
	v_fmac_f64_e32 v[78:79], s[18:19], v[60:61]
	v_fmac_f64_e32 v[2:3], s[8:9], v[60:61]
	;; [unrolled: 1-line block ×4, first 2 shown]
	v_add_f64 v[48:49], v[38:39], -v[40:41]
	v_add_f64 v[50:51], v[46:47], -v[44:45]
	v_add_f64 v[50:51], v[48:49], v[50:51]
	v_add_f64 v[48:49], v[40:41], v[44:45]
	v_fma_f64 v[48:49], -0.5, v[48:49], v[12:13]
	v_add_f64 v[54:55], v[32:33], -v[42:43]
	v_add_f64 v[62:63], v[34:35], -v[36:37]
	v_fma_f64 v[52:53], s[2:3], v[54:55], v[48:49]
	v_fmac_f64_e32 v[48:49], s[16:17], v[54:55]
	v_fmac_f64_e32 v[52:53], s[8:9], v[62:63]
	;; [unrolled: 1-line block ×3, first 2 shown]
	v_add_f64 v[60:61], v[38:39], v[46:47]
	v_fmac_f64_e32 v[52:53], s[14:15], v[50:51]
	v_fmac_f64_e32 v[48:49], s[14:15], v[50:51]
	v_add_f64 v[50:51], v[12:13], v[38:39]
	v_fmac_f64_e32 v[12:13], -0.5, v[60:61]
	v_add_f64 v[60:61], v[40:41], -v[38:39]
	v_add_f64 v[64:65], v[44:45], -v[46:47]
	v_add_f64 v[64:65], v[60:61], v[64:65]
	v_fma_f64 v[60:61], s[16:17], v[62:63], v[12:13]
	v_fmac_f64_e32 v[12:13], s[2:3], v[62:63]
	v_add_f64 v[50:51], v[50:51], v[40:41]
	v_fmac_f64_e32 v[60:61], s[8:9], v[54:55]
	v_fmac_f64_e32 v[12:13], s[18:19], v[54:55]
	v_add_f64 v[50:51], v[50:51], v[44:45]
	v_add_f64 v[54:55], v[14:15], v[32:33]
	v_fmac_f64_e32 v[60:61], s[14:15], v[64:65]
	v_fmac_f64_e32 v[12:13], s[14:15], v[64:65]
	v_add_f64 v[54:55], v[54:55], v[34:35]
	v_add_f64 v[64:65], v[50:51], v[46:47]
	v_add_f64 v[50:51], v[34:35], v[36:37]
	v_add_f64 v[54:55], v[54:55], v[36:37]
	v_fma_f64 v[50:51], -0.5, v[50:51], v[14:15]
	v_add_f64 v[38:39], v[38:39], -v[46:47]
	ds_write_b128 v134, v[20:23] offset:1232
	ds_write_b128 v134, v[28:31] offset:2464
	;; [unrolled: 1-line block ×4, first 2 shown]
	v_mov_b32_e32 v16, 4
	v_add_f64 v[66:67], v[54:55], v[42:43]
	v_add_f64 v[40:41], v[40:41], -v[44:45]
	v_add_f64 v[44:45], v[32:33], -v[34:35]
	;; [unrolled: 1-line block ×3, first 2 shown]
	v_fma_f64 v[54:55], s[16:17], v[38:39], v[50:51]
	v_fmac_f64_e32 v[50:51], s[2:3], v[38:39]
	s_movk_i32 s0, 0x181
	v_lshlrev_b32_sdwa v16, v16, v170 dst_sel:DWORD dst_unused:UNUSED_PAD src0_sel:DWORD src1_sel:BYTE_0
	v_add_f64 v[44:45], v[44:45], v[46:47]
	v_fmac_f64_e32 v[54:55], s[18:19], v[40:41]
	v_fmac_f64_e32 v[50:51], s[8:9], v[40:41]
	ds_write_b128 v16, v[96:99] offset:12320
	ds_write_b128 v16, v[88:91] offset:13552
	;; [unrolled: 1-line block ×4, first 2 shown]
	v_mad_legacy_u16 v8, v168, s0, v169
	v_fmac_f64_e32 v[54:55], s[14:15], v[44:45]
	v_fmac_f64_e32 v[50:51], s[14:15], v[44:45]
	v_add_f64 v[44:45], v[32:33], v[42:43]
	v_lshlrev_b32_e32 v8, 4, v8
	v_fmac_f64_e32 v[14:15], -0.5, v[44:45]
	ds_write_b128 v16, v[24:27] offset:17248
	ds_write_b128 v8, v[116:119]
	ds_write_b128 v8, v[108:111] offset:1232
	ds_write_b128 v8, v[112:115] offset:2464
	;; [unrolled: 1-line block ×3, first 2 shown]
	v_mad_legacy_u16 v4, v105, s0, v135
	v_add_f64 v[32:33], v[34:35], -v[32:33]
	v_add_f64 v[34:35], v[36:37], -v[42:43]
	v_fma_f64 v[62:63], s[2:3], v[40:41], v[14:15]
	v_fmac_f64_e32 v[14:15], s[16:17], v[40:41]
	v_lshlrev_b32_e32 v4, 4, v4
	v_add_f64 v[32:33], v[32:33], v[34:35]
	v_fmac_f64_e32 v[62:63], s[18:19], v[38:39]
	v_fmac_f64_e32 v[14:15], s[8:9], v[38:39]
	ds_write_b128 v8, v[84:87] offset:4928
	ds_write_b128 v4, v[80:83]
	ds_write_b128 v4, v[72:75] offset:1232
	ds_write_b128 v4, v[76:79] offset:2464
	;; [unrolled: 1-line block ×3, first 2 shown]
	v_lshlrev_b32_e32 v0, 4, v103
	v_fmac_f64_e32 v[62:63], s[14:15], v[32:33]
	v_fmac_f64_e32 v[14:15], s[14:15], v[32:33]
	ds_write_b128 v4, v[68:71] offset:4928
	ds_write_b128 v0, v[64:67] offset:24640
	;; [unrolled: 1-line block ×5, first 2 shown]
	v_accvgpr_write_b32 a255, v0
	ds_write_b128 v0, v[48:51] offset:29568
	v_add_co_u32_e64 v0, s[0:1], s22, v106
	s_waitcnt lgkmcnt(0)
	s_nop 0
	v_addc_co_u32_e64 v1, s[0:1], 0, v107, s[0:1]
	; wave barrier
	global_load_dwordx4 v[56:59], v[0:1], off offset:1952
	v_lshl_add_u64 v[0:1], v[106:107], 0, s[20:21]
	global_load_dwordx4 v[64:67], v[0:1], off offset:16
	global_load_dwordx4 v[60:63], v[0:1], off offset:32
	global_load_dwordx4 v[52:55], v[0:1], off offset:48
	v_lshl_add_u64 v[0:1], s[10:11], 0, v[136:137]
	v_add_co_u32_e64 v2, s[0:1], s22, v0
	v_lshlrev_b32_e32 v136, 6, v186
	s_nop 0
	v_addc_co_u32_e64 v3, s[0:1], 0, v1, s[0:1]
	global_load_dwordx4 v[68:71], v[2:3], off offset:1952
	v_lshl_add_u64 v[0:1], v[0:1], 0, s[20:21]
	global_load_dwordx4 v[80:83], v[0:1], off offset:16
	global_load_dwordx4 v[76:79], v[0:1], off offset:32
	;; [unrolled: 1-line block ×3, first 2 shown]
	v_lshl_add_u64 v[0:1], s[10:11], 0, v[136:137]
	v_add_co_u32_e64 v2, s[0:1], s22, v0
	v_lshlrev_b32_e32 v136, 6, v254
	s_nop 0
	v_addc_co_u32_e64 v3, s[0:1], 0, v1, s[0:1]
	global_load_dwordx4 v[84:87], v[2:3], off offset:1952
	v_lshl_add_u64 v[0:1], v[0:1], 0, s[20:21]
	global_load_dwordx4 v[140:143], v[0:1], off offset:16
	global_load_dwordx4 v[88:91], v[0:1], off offset:32
	;; [unrolled: 1-line block ×3, first 2 shown]
	v_lshl_add_u64 v[48:49], s[10:11], 0, v[136:137]
	v_add_co_u32_e64 v0, s[0:1], s22, v48
	v_accvgpr_write_b32 a231, v16
	s_nop 0
	v_addc_co_u32_e64 v1, s[0:1], 0, v49, s[0:1]
	global_load_dwordx4 v[92:95], v[0:1], off offset:1952
	v_accvgpr_write_b32 a148, v8
	v_accvgpr_write_b32 a249, v4
	ds_read_b128 v[0:3], v180 offset:6160
	ds_read_b128 v[4:7], v180 offset:12320
	;; [unrolled: 1-line block ×12, first 2 shown]
	v_accvgpr_write_b32 a254, v134
	v_lshlrev_b32_e32 v136, 6, v184
	s_waitcnt vmcnt(12) lgkmcnt(11)
	v_mul_f64 v[50:51], v[2:3], v[58:59]
	v_fma_f64 v[106:107], v[0:1], v[56:57], -v[50:51]
	v_mul_f64 v[108:109], v[0:1], v[58:59]
	s_waitcnt vmcnt(11) lgkmcnt(10)
	v_mul_f64 v[0:1], v[6:7], v[66:67]
	v_fma_f64 v[110:111], v[4:5], v[64:65], -v[0:1]
	s_waitcnt vmcnt(10) lgkmcnt(9)
	v_mul_f64 v[0:1], v[10:11], v[62:63]
	v_fma_f64 v[114:115], v[8:9], v[60:61], -v[0:1]
	;; [unrolled: 3-line block ×6, first 2 shown]
	s_waitcnt vmcnt(5) lgkmcnt(4)
	v_mul_f64 v[0:1], v[30:31], v[74:75]
	v_mul_f64 v[132:133], v[24:25], v[78:79]
	v_accvgpr_write_b32 a239, v79
	v_fma_f64 v[134:135], v[28:29], v[72:73], -v[0:1]
	s_waitcnt vmcnt(4) lgkmcnt(3)
	v_mul_f64 v[0:1], v[34:35], v[86:87]
	v_accvgpr_write_b32 a238, v78
	v_accvgpr_write_b32 a237, v77
	;; [unrolled: 1-line block ×3, first 2 shown]
	v_fmac_f64_e32 v[132:133], v[26:27], v[76:77]
	v_fma_f64 v[78:79], v[32:33], v[84:85], -v[0:1]
	v_mul_f64 v[76:77], v[32:33], v[86:87]
	v_accvgpr_write_b32 a0, v84
	s_waitcnt vmcnt(3) lgkmcnt(2)
	v_mul_f64 v[0:1], v[38:39], v[142:143]
	v_accvgpr_write_b32 a1, v85
	v_accvgpr_write_b32 a2, v86
	;; [unrolled: 1-line block ×3, first 2 shown]
	v_fmac_f64_e32 v[76:77], v[34:35], v[84:85]
	v_fma_f64 v[84:85], v[36:37], v[140:141], -v[0:1]
	s_waitcnt vmcnt(2) lgkmcnt(1)
	v_mul_f64 v[0:1], v[42:43], v[90:91]
	v_accvgpr_write_b32 a235, v83
	v_fma_f64 v[86:87], v[40:41], v[88:89], -v[0:1]
	v_accvgpr_write_b32 a253, v91
	s_waitcnt vmcnt(1) lgkmcnt(0)
	v_mul_f64 v[0:1], v[46:47], v[98:99]
	v_fmac_f64_e32 v[108:109], v[2:3], v[56:57]
	v_mul_f64 v[128:129], v[20:21], v[82:83]
	v_accvgpr_write_b32 a234, v82
	v_accvgpr_write_b32 a233, v81
	;; [unrolled: 1-line block ×3, first 2 shown]
	v_mul_f64 v[82:83], v[40:41], v[90:91]
	v_accvgpr_write_b32 a252, v90
	v_accvgpr_write_b32 a251, v89
	;; [unrolled: 1-line block ×3, first 2 shown]
	v_fma_f64 v[90:91], v[44:45], v[96:97], -v[0:1]
	ds_read_b128 v[0:3], v180 offset:8800
	v_mul_f64 v[112:113], v[4:5], v[66:67]
	v_accvgpr_write_b32 a221, v63
	v_mul_f64 v[116:117], v[8:9], v[62:63]
	v_accvgpr_write_b32 a220, v62
	s_waitcnt vmcnt(0) lgkmcnt(0)
	v_mul_f64 v[4:5], v[2:3], v[94:95]
	v_accvgpr_write_b32 a219, v61
	v_accvgpr_write_b32 a218, v60
	v_fma_f64 v[62:63], v[0:1], v[92:93], -v[4:5]
	v_lshl_add_u64 v[4:5], v[48:49], 0, s[20:21]
	global_load_dwordx4 v[220:223], v[4:5], off offset:16
	global_load_dwordx4 v[212:215], v[4:5], off offset:32
	;; [unrolled: 1-line block ×3, first 2 shown]
	v_fmac_f64_e32 v[116:117], v[10:11], v[60:61]
	v_mul_f64 v[60:61], v[0:1], v[94:95]
	v_fmac_f64_e32 v[60:61], v[2:3], v[92:93]
	ds_read_b128 v[0:3], v180 offset:14960
	v_accvgpr_write_b32 a209, v67
	v_accvgpr_write_b32 a208, v66
	;; [unrolled: 1-line block ×4, first 2 shown]
	v_fmac_f64_e32 v[112:113], v[6:7], v[64:65]
	v_mul_f64 v[124:125], v[16:17], v[70:71]
	v_accvgpr_write_b32 a225, v71
	v_accvgpr_write_b32 a224, v70
	v_accvgpr_write_b32 a223, v69
	v_accvgpr_write_b32 a222, v68
	v_fmac_f64_e32 v[124:125], v[18:19], v[68:69]
	v_accvgpr_write_b32 a243, v75
	v_mul_f64 v[138:139], v[28:29], v[74:75]
	v_accvgpr_write_b32 a242, v74
	v_accvgpr_write_b32 a241, v73
	;; [unrolled: 1-line block ×3, first 2 shown]
	v_fmac_f64_e32 v[138:139], v[30:31], v[72:73]
	v_accvgpr_write_b32 a229, v95
	v_fmac_f64_e32 v[82:83], v[42:43], v[88:89]
	v_mul_f64 v[88:89], v[44:45], v[98:99]
	v_accvgpr_write_b32 a228, v94
	v_accvgpr_write_b32 a227, v93
	v_accvgpr_write_b32 a226, v92
	ds_read_b128 v[92:95], v180 offset:29920
	v_fmac_f64_e32 v[88:89], v[46:47], v[96:97]
	v_mul_f64 v[120:121], v[12:13], v[54:55]
	v_accvgpr_write_b32 a217, v55
	v_accvgpr_write_b32 a216, v54
	;; [unrolled: 1-line block ×4, first 2 shown]
	v_fmac_f64_e32 v[120:121], v[14:15], v[52:53]
	v_accvgpr_write_b32 a205, v59
	v_accvgpr_write_b32 a204, v58
	;; [unrolled: 1-line block ×4, first 2 shown]
	v_fmac_f64_e32 v[128:129], v[22:23], v[80:81]
	v_mul_f64 v[80:81], v[36:37], v[142:143]
	v_fmac_f64_e32 v[80:81], v[38:39], v[140:141]
	v_accvgpr_write_b32 a4, v96
	v_accvgpr_write_b32 a5, v97
	;; [unrolled: 1-line block ×8, first 2 shown]
	v_add_f64 v[142:143], v[108:109], -v[120:121]
	v_add_f64 v[146:147], v[106:107], -v[118:119]
	;; [unrolled: 1-line block ×4, first 2 shown]
	s_waitcnt vmcnt(2) lgkmcnt(1)
	v_mul_f64 v[6:7], v[2:3], v[222:223]
	v_mul_f64 v[64:65], v[0:1], v[222:223]
	v_fma_f64 v[66:67], v[0:1], v[220:221], -v[6:7]
	v_fmac_f64_e32 v[64:65], v[2:3], v[220:221]
	ds_read_b128 v[0:3], v180 offset:21120
	s_waitcnt vmcnt(1) lgkmcnt(0)
	v_mul_f64 v[6:7], v[2:3], v[214:215]
	v_mul_f64 v[68:69], v[0:1], v[214:215]
	v_fma_f64 v[70:71], v[0:1], v[212:213], -v[6:7]
	v_fmac_f64_e32 v[68:69], v[2:3], v[212:213]
	ds_read_b128 v[0:3], v180 offset:27280
	s_waitcnt vmcnt(0) lgkmcnt(0)
	v_mul_f64 v[4:5], v[2:3], v[210:211]
	v_fma_f64 v[74:75], v[0:1], v[208:209], -v[4:5]
	v_lshl_add_u64 v[4:5], s[10:11], 0, v[136:137]
	v_mul_f64 v[72:73], v[0:1], v[210:211]
	v_add_co_u32_e64 v0, s[0:1], s22, v4
	v_fmac_f64_e32 v[72:73], v[2:3], v[208:209]
	s_nop 0
	v_addc_co_u32_e64 v1, s[0:1], 0, v5, s[0:1]
	global_load_dwordx4 v[244:247], v[0:1], off offset:1952
	v_lshl_add_u64 v[4:5], v[4:5], 0, s[20:21]
	global_load_dwordx4 v[236:239], v[4:5], off offset:16
	global_load_dwordx4 v[232:235], v[4:5], off offset:32
	;; [unrolled: 1-line block ×3, first 2 shown]
	ds_read_b128 v[0:3], v180 offset:9680
	v_lshlrev_b32_e32 v136, 6, v104
	v_add_f64 v[104:105], v[120:121], -v[116:117]
	s_waitcnt vmcnt(3) lgkmcnt(0)
	v_mul_f64 v[6:7], v[2:3], v[246:247]
	v_mul_f64 v[44:45], v[0:1], v[246:247]
	v_fma_f64 v[46:47], v[0:1], v[244:245], -v[6:7]
	v_fmac_f64_e32 v[44:45], v[2:3], v[244:245]
	ds_read_b128 v[0:3], v180 offset:15840
	s_waitcnt vmcnt(2) lgkmcnt(0)
	v_mul_f64 v[6:7], v[2:3], v[238:239]
	v_mul_f64 v[48:49], v[0:1], v[238:239]
	v_fma_f64 v[50:51], v[0:1], v[236:237], -v[6:7]
	v_fmac_f64_e32 v[48:49], v[2:3], v[236:237]
	ds_read_b128 v[0:3], v180 offset:22000
	;; [unrolled: 6-line block ×3, first 2 shown]
	s_waitcnt vmcnt(0) lgkmcnt(0)
	v_mul_f64 v[4:5], v[2:3], v[202:203]
	v_fma_f64 v[58:59], v[0:1], v[200:201], -v[4:5]
	v_lshl_add_u64 v[4:5], s[10:11], 0, v[136:137]
	v_mul_f64 v[56:57], v[0:1], v[202:203]
	v_add_co_u32_e64 v0, s[0:1], s22, v4
	v_fmac_f64_e32 v[56:57], v[2:3], v[200:201]
	s_nop 0
	v_addc_co_u32_e64 v1, s[0:1], 0, v5, s[0:1]
	global_load_dwordx4 v[240:243], v[0:1], off offset:1952
	v_lshl_add_u64 v[4:5], v[4:5], 0, s[20:21]
	global_load_dwordx4 v[248:251], v[4:5], off offset:16
	global_load_dwordx4 v[228:231], v[4:5], off offset:32
	;; [unrolled: 1-line block ×3, first 2 shown]
	ds_read_b128 v[0:3], v180 offset:10560
	v_lshlrev_b32_e32 v136, 6, v102
	v_add_f64 v[102:103], v[108:109], -v[112:113]
	v_add_f64 v[140:141], v[102:103], v[104:105]
	s_waitcnt vmcnt(3) lgkmcnt(0)
	v_mul_f64 v[6:7], v[2:3], v[242:243]
	v_mul_f64 v[12:13], v[0:1], v[242:243]
	v_fma_f64 v[14:15], v[0:1], v[240:241], -v[6:7]
	v_fmac_f64_e32 v[12:13], v[2:3], v[240:241]
	ds_read_b128 v[0:3], v180 offset:16720
	s_waitcnt vmcnt(2) lgkmcnt(0)
	v_mul_f64 v[6:7], v[2:3], v[250:251]
	v_mul_f64 v[32:33], v[0:1], v[250:251]
	v_fma_f64 v[34:35], v[0:1], v[248:249], -v[6:7]
	v_fmac_f64_e32 v[32:33], v[2:3], v[248:249]
	ds_read_b128 v[0:3], v180 offset:22880
	;; [unrolled: 6-line block ×3, first 2 shown]
	s_waitcnt vmcnt(0) lgkmcnt(0)
	v_mul_f64 v[4:5], v[2:3], v[226:227]
	v_fma_f64 v[42:43], v[0:1], v[224:225], -v[4:5]
	v_lshl_add_u64 v[4:5], s[10:11], 0, v[136:137]
	v_mul_f64 v[40:41], v[0:1], v[226:227]
	v_add_co_u32_e64 v0, s[0:1], s22, v4
	v_lshl_add_u64 v[28:29], v[4:5], 0, s[20:21]
	s_nop 0
	v_addc_co_u32_e64 v1, s[0:1], 0, v5, s[0:1]
	global_load_dwordx4 v[252:255], v[0:1], off offset:1952
	global_load_dwordx4 v[8:11], v[28:29], off offset:16
	v_fmac_f64_e32 v[40:41], v[2:3], v[224:225]
	ds_read_b128 v[0:3], v180 offset:11440
	s_movk_i32 s0, 0x7000
	s_mov_b32 s20, 0x37e14327
	s_mov_b32 s21, 0x3fe948f6
	;; [unrolled: 1-line block ×5, first 2 shown]
	s_waitcnt vmcnt(1) lgkmcnt(0)
	v_mul_f64 v[6:7], v[2:3], v[254:255]
	v_mul_f64 v[16:17], v[0:1], v[254:255]
	v_fma_f64 v[18:19], v[0:1], v[252:253], -v[6:7]
	v_fmac_f64_e32 v[16:17], v[2:3], v[252:253]
	ds_read_b128 v[0:3], v180 offset:17600
	s_waitcnt vmcnt(0) lgkmcnt(0)
	v_mul_f64 v[4:5], v[2:3], v[10:11]
	v_fma_f64 v[22:23], v[0:1], v[8:9], -v[4:5]
	global_load_dwordx4 v[4:7], v[28:29], off offset:32
	v_mul_f64 v[20:21], v[0:1], v[10:11]
	v_fmac_f64_e32 v[20:21], v[2:3], v[8:9]
	ds_read_b128 v[0:3], v180 offset:23760
	s_waitcnt vmcnt(0) lgkmcnt(0)
	v_mul_f64 v[24:25], v[2:3], v[6:7]
	v_fma_f64 v[26:27], v[0:1], v[4:5], -v[24:25]
	v_mul_f64 v[24:25], v[0:1], v[6:7]
	v_fmac_f64_e32 v[24:25], v[2:3], v[4:5]
	global_load_dwordx4 v[0:3], v[28:29], off offset:48
	s_waitcnt vmcnt(0)
	v_mul_f64 v[28:29], v[94:95], v[2:3]
	v_fma_f64 v[30:31], v[92:93], v[0:1], -v[28:29]
	v_mul_f64 v[28:29], v[92:93], v[2:3]
	v_fmac_f64_e32 v[28:29], v[94:95], v[0:1]
	ds_read_b128 v[92:95], v180
	s_waitcnt lgkmcnt(0)
	v_add_f64 v[96:97], v[92:93], v[106:107]
	v_add_f64 v[98:99], v[94:95], v[108:109]
	;; [unrolled: 1-line block ×8, first 2 shown]
	ds_write_b128 v180, v[96:99]
	v_add_f64 v[96:97], v[106:107], -v[110:111]
	v_add_f64 v[98:99], v[118:119], -v[114:115]
	v_add_f64 v[136:137], v[96:97], v[98:99]
	v_add_f64 v[96:97], v[110:111], v[114:115]
	;; [unrolled: 1-line block ×3, first 2 shown]
	v_fma_f64 v[96:97], -0.5, v[96:97], v[92:93]
	v_fma_f64 v[98:99], -0.5, v[98:99], v[94:95]
	v_fma_f64 v[102:103], s[2:3], v[142:143], v[96:97]
	v_fma_f64 v[104:105], s[16:17], v[146:147], v[98:99]
	v_fmac_f64_e32 v[102:103], s[8:9], v[144:145]
	v_fmac_f64_e32 v[104:105], s[18:19], v[148:149]
	;; [unrolled: 1-line block ×4, first 2 shown]
	ds_write_b128 v180, v[102:105] offset:6160
	v_add_f64 v[102:103], v[106:107], v[118:119]
	v_fmac_f64_e32 v[92:93], -0.5, v[102:103]
	v_add_f64 v[102:103], v[110:111], -v[106:107]
	v_add_f64 v[104:105], v[114:115], -v[118:119]
	v_add_f64 v[106:107], v[102:103], v[104:105]
	v_add_f64 v[102:103], v[108:109], v[120:121]
	v_fmac_f64_e32 v[94:95], -0.5, v[102:103]
	v_add_f64 v[102:103], v[112:113], -v[108:109]
	v_add_f64 v[104:105], v[116:117], -v[120:121]
	v_add_f64 v[108:109], v[102:103], v[104:105]
	v_fma_f64 v[102:103], s[16:17], v[144:145], v[92:93]
	v_fma_f64 v[104:105], s[2:3], v[148:149], v[94:95]
	v_fmac_f64_e32 v[92:93], s[2:3], v[144:145]
	v_fmac_f64_e32 v[94:95], s[16:17], v[148:149]
	;; [unrolled: 1-line block ×6, first 2 shown]
	ds_write_b128 v180, v[92:95] offset:18480
	ds_read_b128 v[92:95], v180 offset:880
	v_fmac_f64_e32 v[96:97], s[16:17], v[142:143]
	v_fmac_f64_e32 v[98:99], s[2:3], v[146:147]
	;; [unrolled: 1-line block ×6, first 2 shown]
	ds_write_b128 v180, v[96:99] offset:24640
	s_waitcnt lgkmcnt(1)
	v_add_f64 v[96:97], v[92:93], v[122:123]
	v_add_f64 v[98:99], v[94:95], v[124:125]
	;; [unrolled: 1-line block ×8, first 2 shown]
	v_fmac_f64_e32 v[102:103], s[8:9], v[142:143]
	v_fmac_f64_e32 v[104:105], s[18:19], v[146:147]
	ds_write_b128 v180, v[96:99] offset:880
	v_add_f64 v[96:97], v[122:123], -v[126:127]
	v_add_f64 v[98:99], v[134:135], -v[130:131]
	v_fmac_f64_e32 v[102:103], s[14:15], v[106:107]
	v_fmac_f64_e32 v[104:105], s[14:15], v[108:109]
	v_add_f64 v[106:107], v[96:97], v[98:99]
	v_add_f64 v[96:97], v[126:127], v[130:131]
	v_add_f64 v[98:99], v[128:129], v[132:133]
	ds_write_b128 v180, v[102:105] offset:12320
	v_fma_f64 v[96:97], -0.5, v[96:97], v[92:93]
	v_fma_f64 v[98:99], -0.5, v[98:99], v[94:95]
	v_add_f64 v[102:103], v[124:125], -v[128:129]
	v_add_f64 v[104:105], v[138:139], -v[132:133]
	;; [unrolled: 1-line block ×4, first 2 shown]
	v_add_f64 v[108:109], v[102:103], v[104:105]
	v_add_f64 v[112:113], v[128:129], -v[132:133]
	v_fma_f64 v[102:103], s[2:3], v[110:111], v[96:97]
	v_fma_f64 v[104:105], s[16:17], v[114:115], v[98:99]
	v_add_f64 v[116:117], v[126:127], -v[130:131]
	v_fmac_f64_e32 v[102:103], s[8:9], v[112:113]
	v_fmac_f64_e32 v[104:105], s[18:19], v[116:117]
	;; [unrolled: 1-line block ×4, first 2 shown]
	ds_write_b128 v180, v[102:105] offset:7040
	v_add_f64 v[102:103], v[122:123], v[134:135]
	v_fmac_f64_e32 v[92:93], -0.5, v[102:103]
	v_add_f64 v[102:103], v[126:127], -v[122:123]
	v_add_f64 v[104:105], v[130:131], -v[134:135]
	v_add_f64 v[118:119], v[102:103], v[104:105]
	v_add_f64 v[102:103], v[124:125], v[138:139]
	v_fmac_f64_e32 v[94:95], -0.5, v[102:103]
	v_add_f64 v[102:103], v[128:129], -v[124:125]
	v_add_f64 v[104:105], v[132:133], -v[138:139]
	v_add_f64 v[120:121], v[102:103], v[104:105]
	v_fma_f64 v[102:103], s[16:17], v[112:113], v[92:93]
	v_fma_f64 v[104:105], s[2:3], v[116:117], v[94:95]
	v_fmac_f64_e32 v[92:93], s[2:3], v[112:113]
	v_fmac_f64_e32 v[94:95], s[16:17], v[116:117]
	;; [unrolled: 1-line block ×6, first 2 shown]
	ds_write_b128 v180, v[92:95] offset:19360
	ds_read_b128 v[92:95], v180 offset:1760
	v_fmac_f64_e32 v[96:97], s[16:17], v[110:111]
	v_fmac_f64_e32 v[98:99], s[2:3], v[114:115]
	;; [unrolled: 1-line block ×6, first 2 shown]
	ds_write_b128 v180, v[96:99] offset:25520
	s_waitcnt lgkmcnt(1)
	v_add_f64 v[96:97], v[92:93], v[78:79]
	v_add_f64 v[98:99], v[94:95], v[76:77]
	;; [unrolled: 1-line block ×8, first 2 shown]
	v_fmac_f64_e32 v[102:103], s[8:9], v[110:111]
	v_fmac_f64_e32 v[104:105], s[18:19], v[114:115]
	ds_write_b128 v180, v[96:99] offset:1760
	v_add_f64 v[96:97], v[78:79], -v[84:85]
	v_add_f64 v[98:99], v[90:91], -v[86:87]
	v_fmac_f64_e32 v[102:103], s[14:15], v[118:119]
	v_fmac_f64_e32 v[104:105], s[14:15], v[120:121]
	v_add_f64 v[106:107], v[96:97], v[98:99]
	v_add_f64 v[96:97], v[84:85], v[86:87]
	;; [unrolled: 1-line block ×3, first 2 shown]
	ds_write_b128 v180, v[102:105] offset:13200
	v_fma_f64 v[96:97], -0.5, v[96:97], v[92:93]
	v_fma_f64 v[98:99], -0.5, v[98:99], v[94:95]
	v_add_f64 v[102:103], v[76:77], -v[80:81]
	v_add_f64 v[104:105], v[88:89], -v[82:83]
	;; [unrolled: 1-line block ×4, first 2 shown]
	v_add_f64 v[108:109], v[102:103], v[104:105]
	v_add_f64 v[112:113], v[80:81], -v[82:83]
	v_fma_f64 v[102:103], s[2:3], v[110:111], v[96:97]
	v_fma_f64 v[104:105], s[16:17], v[114:115], v[98:99]
	v_add_f64 v[116:117], v[84:85], -v[86:87]
	v_fmac_f64_e32 v[102:103], s[8:9], v[112:113]
	v_fmac_f64_e32 v[104:105], s[18:19], v[116:117]
	v_fmac_f64_e32 v[102:103], s[14:15], v[106:107]
	v_fmac_f64_e32 v[104:105], s[14:15], v[108:109]
	ds_write_b128 v180, v[102:105] offset:7920
	v_add_f64 v[102:103], v[78:79], v[90:91]
	v_add_f64 v[78:79], v[84:85], -v[78:79]
	v_add_f64 v[84:85], v[86:87], -v[90:91]
	v_add_f64 v[84:85], v[78:79], v[84:85]
	v_add_f64 v[78:79], v[76:77], v[88:89]
	v_fmac_f64_e32 v[92:93], -0.5, v[102:103]
	v_fmac_f64_e32 v[94:95], -0.5, v[78:79]
	v_add_f64 v[76:77], v[80:81], -v[76:77]
	v_add_f64 v[78:79], v[82:83], -v[88:89]
	v_add_f64 v[80:81], v[76:77], v[78:79]
	v_fma_f64 v[76:77], s[16:17], v[112:113], v[92:93]
	v_fma_f64 v[78:79], s[2:3], v[116:117], v[94:95]
	v_fmac_f64_e32 v[76:77], s[8:9], v[110:111]
	v_fmac_f64_e32 v[78:79], s[18:19], v[114:115]
	;; [unrolled: 1-line block ×4, first 2 shown]
	ds_write_b128 v180, v[76:79] offset:14080
	ds_read_b128 v[76:79], v180 offset:2640
	v_fmac_f64_e32 v[94:95], s[16:17], v[116:117]
	v_fmac_f64_e32 v[94:95], s[8:9], v[114:115]
	;; [unrolled: 1-line block ×4, first 2 shown]
	s_waitcnt lgkmcnt(0)
	v_add_f64 v[80:81], v[76:77], v[62:63]
	v_add_f64 v[82:83], v[78:79], v[60:61]
	;; [unrolled: 1-line block ×6, first 2 shown]
	v_fmac_f64_e32 v[96:97], s[16:17], v[110:111]
	v_fmac_f64_e32 v[98:99], s[2:3], v[114:115]
	v_add_f64 v[80:81], v[80:81], v[74:75]
	v_add_f64 v[82:83], v[82:83], v[72:73]
	v_fmac_f64_e32 v[92:93], s[18:19], v[110:111]
	v_fmac_f64_e32 v[96:97], s[18:19], v[112:113]
	;; [unrolled: 1-line block ×3, first 2 shown]
	ds_write_b128 v180, v[80:83] offset:2640
	v_add_f64 v[80:81], v[62:63], -v[66:67]
	v_add_f64 v[82:83], v[74:75], -v[70:71]
	v_fmac_f64_e32 v[92:93], s[14:15], v[84:85]
	v_fmac_f64_e32 v[96:97], s[14:15], v[106:107]
	;; [unrolled: 1-line block ×3, first 2 shown]
	v_add_f64 v[88:89], v[80:81], v[82:83]
	v_add_f64 v[80:81], v[66:67], v[70:71]
	v_add_f64 v[82:83], v[64:65], v[68:69]
	ds_write_b128 v180, v[92:95] offset:20240
	ds_write_b128 v180, v[96:99] offset:26400
	v_fma_f64 v[80:81], -0.5, v[80:81], v[76:77]
	v_fma_f64 v[82:83], -0.5, v[82:83], v[78:79]
	v_add_f64 v[84:85], v[60:61], -v[64:65]
	v_add_f64 v[86:87], v[72:73], -v[68:69]
	v_add_f64 v[92:93], v[60:61], -v[72:73]
	v_add_f64 v[96:97], v[62:63], -v[74:75]
	v_add_f64 v[90:91], v[84:85], v[86:87]
	v_add_f64 v[94:95], v[64:65], -v[68:69]
	v_fma_f64 v[84:85], s[2:3], v[92:93], v[80:81]
	v_fma_f64 v[86:87], s[16:17], v[96:97], v[82:83]
	v_add_f64 v[98:99], v[66:67], -v[70:71]
	v_fmac_f64_e32 v[84:85], s[8:9], v[94:95]
	v_fmac_f64_e32 v[86:87], s[18:19], v[98:99]
	v_fmac_f64_e32 v[84:85], s[14:15], v[88:89]
	v_fmac_f64_e32 v[86:87], s[14:15], v[90:91]
	ds_write_b128 v180, v[84:87] offset:8800
	v_add_f64 v[84:85], v[62:63], v[74:75]
	v_add_f64 v[62:63], v[66:67], -v[62:63]
	v_add_f64 v[66:67], v[70:71], -v[74:75]
	v_add_f64 v[66:67], v[62:63], v[66:67]
	v_add_f64 v[62:63], v[60:61], v[72:73]
	v_fmac_f64_e32 v[76:77], -0.5, v[84:85]
	v_fmac_f64_e32 v[78:79], -0.5, v[62:63]
	v_add_f64 v[60:61], v[64:65], -v[60:61]
	v_add_f64 v[62:63], v[68:69], -v[72:73]
	v_add_f64 v[64:65], v[60:61], v[62:63]
	v_fma_f64 v[60:61], s[16:17], v[94:95], v[76:77]
	v_fma_f64 v[62:63], s[2:3], v[98:99], v[78:79]
	v_fmac_f64_e32 v[60:61], s[8:9], v[92:93]
	v_fmac_f64_e32 v[62:63], s[18:19], v[96:97]
	v_fmac_f64_e32 v[60:61], s[14:15], v[66:67]
	v_fmac_f64_e32 v[62:63], s[14:15], v[64:65]
	ds_write_b128 v180, v[60:63] offset:14960
	ds_read_b128 v[60:63], v180 offset:3520
	v_fmac_f64_e32 v[76:77], s[2:3], v[94:95]
	v_fmac_f64_e32 v[78:79], s[16:17], v[98:99]
	v_fmac_f64_e32 v[76:77], s[18:19], v[92:93]
	v_fmac_f64_e32 v[78:79], s[8:9], v[96:97]
	v_fmac_f64_e32 v[76:77], s[14:15], v[66:67]
	v_fmac_f64_e32 v[78:79], s[14:15], v[64:65]
	s_waitcnt lgkmcnt(0)
	v_add_f64 v[64:65], v[60:61], v[46:47]
	v_add_f64 v[66:67], v[62:63], v[44:45]
	v_add_f64 v[64:65], v[64:65], v[50:51]
	v_add_f64 v[66:67], v[66:67], v[48:49]
	v_add_f64 v[64:65], v[64:65], v[54:55]
	v_add_f64 v[66:67], v[66:67], v[52:53]
	v_fmac_f64_e32 v[80:81], s[16:17], v[92:93]
	v_fmac_f64_e32 v[82:83], s[2:3], v[96:97]
	v_add_f64 v[64:65], v[64:65], v[58:59]
	v_add_f64 v[66:67], v[66:67], v[56:57]
	v_fmac_f64_e32 v[80:81], s[18:19], v[94:95]
	v_fmac_f64_e32 v[82:83], s[8:9], v[98:99]
	ds_write_b128 v180, v[64:67] offset:3520
	v_add_f64 v[64:65], v[46:47], -v[50:51]
	v_add_f64 v[66:67], v[58:59], -v[54:55]
	v_fmac_f64_e32 v[80:81], s[14:15], v[88:89]
	v_fmac_f64_e32 v[82:83], s[14:15], v[90:91]
	v_add_f64 v[72:73], v[64:65], v[66:67]
	v_add_f64 v[64:65], v[50:51], v[54:55]
	v_add_f64 v[66:67], v[48:49], v[52:53]
	ds_write_b128 v180, v[76:79] offset:21120
	ds_write_b128 v180, v[80:83] offset:27280
	v_fma_f64 v[64:65], -0.5, v[64:65], v[60:61]
	v_fma_f64 v[66:67], -0.5, v[66:67], v[62:63]
	v_add_f64 v[68:69], v[44:45], -v[48:49]
	v_add_f64 v[70:71], v[56:57], -v[52:53]
	v_add_f64 v[76:77], v[44:45], -v[56:57]
	v_add_f64 v[80:81], v[46:47], -v[58:59]
	v_add_f64 v[74:75], v[68:69], v[70:71]
	v_add_f64 v[78:79], v[48:49], -v[52:53]
	v_fma_f64 v[68:69], s[2:3], v[76:77], v[64:65]
	v_fma_f64 v[70:71], s[16:17], v[80:81], v[66:67]
	v_add_f64 v[82:83], v[50:51], -v[54:55]
	v_fmac_f64_e32 v[68:69], s[8:9], v[78:79]
	v_fmac_f64_e32 v[70:71], s[18:19], v[82:83]
	v_fmac_f64_e32 v[68:69], s[14:15], v[72:73]
	v_fmac_f64_e32 v[70:71], s[14:15], v[74:75]
	ds_write_b128 v180, v[68:71] offset:9680
	v_add_f64 v[68:69], v[46:47], v[58:59]
	v_add_f64 v[46:47], v[50:51], -v[46:47]
	v_add_f64 v[50:51], v[54:55], -v[58:59]
	v_add_f64 v[50:51], v[46:47], v[50:51]
	v_add_f64 v[46:47], v[44:45], v[56:57]
	v_fmac_f64_e32 v[60:61], -0.5, v[68:69]
	v_fmac_f64_e32 v[62:63], -0.5, v[46:47]
	v_add_f64 v[44:45], v[48:49], -v[44:45]
	v_add_f64 v[46:47], v[52:53], -v[56:57]
	v_add_f64 v[48:49], v[44:45], v[46:47]
	v_fma_f64 v[44:45], s[16:17], v[78:79], v[60:61]
	v_fma_f64 v[46:47], s[2:3], v[82:83], v[62:63]
	v_fmac_f64_e32 v[44:45], s[8:9], v[76:77]
	v_fmac_f64_e32 v[46:47], s[18:19], v[80:81]
	v_fmac_f64_e32 v[44:45], s[14:15], v[50:51]
	v_fmac_f64_e32 v[46:47], s[14:15], v[48:49]
	ds_write_b128 v180, v[44:47] offset:15840
	ds_read_b128 v[44:47], v180 offset:4400
	v_fmac_f64_e32 v[60:61], s[2:3], v[78:79]
	v_fmac_f64_e32 v[62:63], s[16:17], v[82:83]
	v_fmac_f64_e32 v[60:61], s[18:19], v[76:77]
	v_fmac_f64_e32 v[62:63], s[8:9], v[80:81]
	v_fmac_f64_e32 v[60:61], s[14:15], v[50:51]
	v_fmac_f64_e32 v[62:63], s[14:15], v[48:49]
	s_waitcnt lgkmcnt(0)
	v_add_f64 v[48:49], v[44:45], v[14:15]
	v_add_f64 v[50:51], v[46:47], v[12:13]
	v_add_f64 v[48:49], v[48:49], v[34:35]
	v_add_f64 v[50:51], v[50:51], v[32:33]
	v_add_f64 v[48:49], v[48:49], v[38:39]
	v_add_f64 v[50:51], v[50:51], v[36:37]
	v_fmac_f64_e32 v[64:65], s[16:17], v[76:77]
	v_fmac_f64_e32 v[66:67], s[2:3], v[80:81]
	v_add_f64 v[48:49], v[48:49], v[42:43]
	v_add_f64 v[50:51], v[50:51], v[40:41]
	v_fmac_f64_e32 v[64:65], s[18:19], v[78:79]
	v_fmac_f64_e32 v[66:67], s[8:9], v[82:83]
	ds_write_b128 v180, v[48:51] offset:4400
	v_add_f64 v[48:49], v[14:15], -v[34:35]
	v_add_f64 v[50:51], v[42:43], -v[38:39]
	v_fmac_f64_e32 v[64:65], s[14:15], v[72:73]
	v_fmac_f64_e32 v[66:67], s[14:15], v[74:75]
	;; [unrolled: 63-line block ×3, first 2 shown]
	v_add_f64 v[40:41], v[32:33], v[34:35]
	v_add_f64 v[32:33], v[22:23], v[26:27]
	;; [unrolled: 1-line block ×3, first 2 shown]
	ds_write_b128 v180, v[44:47] offset:22880
	ds_write_b128 v180, v[48:51] offset:29040
	v_fma_f64 v[32:33], -0.5, v[32:33], v[12:13]
	v_fma_f64 v[34:35], -0.5, v[34:35], v[14:15]
	v_add_f64 v[36:37], v[16:17], -v[20:21]
	v_add_f64 v[38:39], v[28:29], -v[24:25]
	;; [unrolled: 1-line block ×4, first 2 shown]
	v_add_f64 v[42:43], v[36:37], v[38:39]
	v_add_f64 v[46:47], v[20:21], -v[24:25]
	v_fma_f64 v[36:37], s[2:3], v[44:45], v[32:33]
	v_fma_f64 v[38:39], s[16:17], v[48:49], v[34:35]
	v_add_f64 v[50:51], v[22:23], -v[26:27]
	v_fmac_f64_e32 v[36:37], s[8:9], v[46:47]
	v_fmac_f64_e32 v[38:39], s[18:19], v[50:51]
	;; [unrolled: 1-line block ×4, first 2 shown]
	ds_write_b128 v180, v[36:39] offset:11440
	v_add_f64 v[36:37], v[18:19], v[30:31]
	v_add_f64 v[18:19], v[22:23], -v[18:19]
	v_add_f64 v[22:23], v[26:27], -v[30:31]
	v_add_f64 v[22:23], v[18:19], v[22:23]
	v_add_f64 v[18:19], v[16:17], v[28:29]
	v_fmac_f64_e32 v[12:13], -0.5, v[36:37]
	v_fmac_f64_e32 v[14:15], -0.5, v[18:19]
	v_add_f64 v[16:17], v[20:21], -v[16:17]
	v_add_f64 v[18:19], v[24:25], -v[28:29]
	v_add_f64 v[20:21], v[16:17], v[18:19]
	v_fma_f64 v[16:17], s[16:17], v[46:47], v[12:13]
	v_fma_f64 v[18:19], s[2:3], v[50:51], v[14:15]
	v_fmac_f64_e32 v[12:13], s[2:3], v[46:47]
	v_fmac_f64_e32 v[14:15], s[16:17], v[50:51]
	;; [unrolled: 1-line block ×10, first 2 shown]
	ds_write_b128 v180, v[12:15] offset:23760
	v_fmac_f64_e32 v[32:33], s[18:19], v[46:47]
	v_fmac_f64_e32 v[34:35], s[8:9], v[50:51]
	v_add_co_u32_e64 v12, s[0:1], s0, v100
	v_fmac_f64_e32 v[16:17], s[14:15], v[22:23]
	v_fmac_f64_e32 v[18:19], s[14:15], v[20:21]
	;; [unrolled: 1-line block ×4, first 2 shown]
	v_addc_co_u32_e64 v13, s[0:1], 0, v101, s[0:1]
	ds_write_b128 v180, v[16:19] offset:17600
	ds_write_b128 v180, v[32:35] offset:29920
	s_waitcnt lgkmcnt(0)
	; wave barrier
	s_waitcnt lgkmcnt(0)
	global_load_dwordx4 v[16:19], v[12:13], off offset:2128
	s_mov_b32 s0, 0x8000
	v_add_co_u32_e64 v50, s[0:1], s0, v100
	ds_read_b128 v[20:23], v180
	ds_read_b128 v[52:55], v180 offset:880
	v_addc_co_u32_e64 v51, s[0:1], 0, v101, s[0:1]
	s_mov_b32 s0, 0x9000
	s_nop 0
	v_add_co_u32_e64 v170, s[0:1], s0, v100
	ds_read_b128 v[24:27], v180 offset:4400
	ds_read_b128 v[28:31], v180 offset:8800
	v_addc_co_u32_e64 v171, s[0:1], 0, v101, s[0:1]
	s_mov_b32 s0, 0xa000
	s_nop 0
	v_add_co_u32_e64 v168, s[0:1], s0, v100
	ds_read_b128 v[32:35], v180 offset:13200
	;; [unrolled: 6-line block ×3, first 2 shown]
	ds_read_b128 v[44:47], v180 offset:26400
	v_addc_co_u32_e64 v173, s[0:1], 0, v101, s[0:1]
	s_mov_b32 s0, 0xc000
	s_nop 0
	v_add_co_u32_e64 v176, s[0:1], s0, v100
	s_mov_b32 s14, 0xaaaaaaaa
	s_nop 0
	v_addc_co_u32_e64 v177, s[0:1], 0, v101, s[0:1]
	s_mov_b32 s0, 0xd000
	s_nop 0
	v_add_co_u32_e64 v48, s[0:1], s0, v100
	s_mov_b32 s15, 0xbff2aaaa
	s_nop 0
	v_addc_co_u32_e64 v49, s[0:1], 0, v101, s[0:1]
	s_mov_b64 s[0:1], 0x7850
	s_nop 0
	v_lshl_add_u64 v[56:57], v[100:101], 0, s[0:1]
	global_load_dwordx4 v[160:163], v[56:57], off offset:3520
	s_mov_b32 s0, 0xe000
	s_mov_b32 s16, 0xe976ee23
	s_mov_b32 s8, 0x429ad128
	s_mov_b32 s17, 0x3fe11646
	s_mov_b32 s9, 0xbfebfeb5
	s_mov_b32 s18, 0x5476071b
	s_mov_b32 s19, 0x3fe77f67
	s_mov_b32 s2, 0x37c3f68c
	s_mov_b32 s22, s18
	s_mov_b32 s3, 0xbfdc38aa
	s_waitcnt vmcnt(1) lgkmcnt(7)
	v_mul_f64 v[12:13], v[22:23], v[18:19]
	v_mul_f64 v[14:15], v[20:21], v[18:19]
	v_fma_f64 v[12:13], v[20:21], v[16:17], -v[12:13]
	v_fmac_f64_e32 v[14:15], v[22:23], v[16:17]
	global_load_dwordx4 v[20:23], v[50:51], off offset:2432
	s_waitcnt vmcnt(0) lgkmcnt(5)
	v_mul_f64 v[16:17], v[26:27], v[22:23]
	v_mul_f64 v[18:19], v[24:25], v[22:23]
	v_fma_f64 v[16:17], v[24:25], v[20:21], -v[16:17]
	v_fmac_f64_e32 v[18:19], v[26:27], v[20:21]
	global_load_dwordx4 v[24:27], v[170:171], off offset:2736
	s_waitcnt vmcnt(0) lgkmcnt(4)
	v_mul_f64 v[20:21], v[30:31], v[26:27]
	v_mul_f64 v[22:23], v[28:29], v[26:27]
	v_fma_f64 v[20:21], v[28:29], v[24:25], -v[20:21]
	v_fmac_f64_e32 v[22:23], v[30:31], v[24:25]
	global_load_dwordx4 v[28:31], v[168:169], off offset:3040
	s_waitcnt vmcnt(0) lgkmcnt(3)
	v_mul_f64 v[24:25], v[34:35], v[30:31]
	v_mul_f64 v[26:27], v[32:33], v[30:31]
	v_fma_f64 v[24:25], v[32:33], v[28:29], -v[24:25]
	v_fmac_f64_e32 v[26:27], v[34:35], v[28:29]
	global_load_dwordx4 v[32:35], v[172:173], off offset:3344
	s_waitcnt vmcnt(0) lgkmcnt(2)
	v_mul_f64 v[28:29], v[38:39], v[34:35]
	v_mul_f64 v[30:31], v[36:37], v[34:35]
	v_fma_f64 v[28:29], v[36:37], v[32:33], -v[28:29]
	v_fmac_f64_e32 v[30:31], v[38:39], v[32:33]
	global_load_dwordx4 v[36:39], v[176:177], off offset:3648
	s_waitcnt vmcnt(0) lgkmcnt(1)
	v_mul_f64 v[32:33], v[42:43], v[38:39]
	v_mul_f64 v[34:35], v[40:41], v[38:39]
	v_fma_f64 v[32:33], v[40:41], v[36:37], -v[32:33]
	v_fmac_f64_e32 v[34:35], v[42:43], v[36:37]
	global_load_dwordx4 v[40:43], v[48:49], off offset:3952
	s_waitcnt vmcnt(0) lgkmcnt(0)
	v_mul_f64 v[36:37], v[46:47], v[42:43]
	v_mul_f64 v[38:39], v[44:45], v[42:43]
	v_fma_f64 v[36:37], v[44:45], v[40:41], -v[36:37]
	v_fmac_f64_e32 v[38:39], v[46:47], v[40:41]
	global_load_dwordx4 v[44:47], v[56:57], off offset:880
	s_waitcnt vmcnt(0)
	v_mul_f64 v[40:41], v[54:55], v[46:47]
	v_mul_f64 v[42:43], v[52:53], v[46:47]
	v_fma_f64 v[40:41], v[52:53], v[44:45], -v[40:41]
	v_fmac_f64_e32 v[42:43], v[54:55], v[44:45]
	global_load_dwordx4 v[44:47], v[50:51], off offset:3312
	ds_read_b128 v[50:53], v180 offset:5280
	s_waitcnt vmcnt(0) lgkmcnt(0)
	v_mul_f64 v[54:55], v[52:53], v[46:47]
	v_mul_f64 v[74:75], v[50:51], v[46:47]
	v_fma_f64 v[72:73], v[50:51], v[44:45], -v[54:55]
	v_fmac_f64_e32 v[74:75], v[52:53], v[44:45]
	global_load_dwordx4 v[44:47], v[170:171], off offset:3616
	ds_read_b128 v[50:53], v180 offset:9680
	s_waitcnt vmcnt(0) lgkmcnt(0)
	;; [unrolled: 7-line block ×5, first 2 shown]
	v_mul_f64 v[54:55], v[52:53], v[46:47]
	v_fma_f64 v[92:93], v[50:51], v[44:45], -v[54:55]
	v_mul_f64 v[94:95], v[50:51], v[46:47]
	v_add_co_u32_e64 v50, s[0:1], s0, v100
	v_fmac_f64_e32 v[94:95], v[52:53], v[44:45]
	s_nop 0
	v_addc_co_u32_e64 v51, s[0:1], 0, v101, s[0:1]
	global_load_dwordx4 v[44:47], v[50:51], off offset:736
	ds_read_b128 v[52:55], v180 offset:27280
	s_mov_b32 s0, 0x36b3c0b5
	s_mov_b32 s1, 0x3fac98ee
	s_waitcnt vmcnt(0) lgkmcnt(0)
	v_mul_f64 v[58:59], v[54:55], v[46:47]
	v_mul_f64 v[102:103], v[52:53], v[46:47]
	v_fma_f64 v[100:101], v[52:53], v[44:45], -v[58:59]
	v_fmac_f64_e32 v[102:103], v[54:55], v[44:45]
	global_load_dwordx4 v[44:47], v[56:57], off offset:1760
	ds_read_b128 v[52:55], v180 offset:1760
	s_waitcnt vmcnt(0) lgkmcnt(0)
	v_mul_f64 v[58:59], v[54:55], v[46:47]
	v_mul_f64 v[106:107], v[52:53], v[46:47]
	v_fma_f64 v[104:105], v[52:53], v[44:45], -v[58:59]
	v_fmac_f64_e32 v[106:107], v[54:55], v[44:45]
	global_load_dwordx4 v[44:47], v[170:171], off offset:96
	ds_read_b128 v[52:55], v180 offset:6160
	;; [unrolled: 7-line block ×14, first 2 shown]
	s_waitcnt vmcnt(0) lgkmcnt(0)
	v_mul_f64 v[58:59], v[54:55], v[46:47]
	v_mul_f64 v[158:159], v[52:53], v[46:47]
	v_fma_f64 v[156:157], v[52:53], v[44:45], -v[58:59]
	v_fmac_f64_e32 v[158:159], v[54:55], v[44:45]
	ds_read_b128 v[44:47], v180 offset:3520
	s_waitcnt lgkmcnt(0)
	v_mul_f64 v[52:53], v[46:47], v[162:163]
	v_mul_f64 v[166:167], v[44:45], v[162:163]
	v_fma_f64 v[164:165], v[44:45], v[160:161], -v[52:53]
	v_fmac_f64_e32 v[166:167], v[46:47], v[160:161]
	global_load_dwordx4 v[44:47], v[170:171], off offset:1856
	ds_read_b128 v[52:55], v180 offset:7920
	s_waitcnt vmcnt(0) lgkmcnt(0)
	v_mul_f64 v[56:57], v[54:55], v[46:47]
	v_mul_f64 v[162:163], v[52:53], v[46:47]
	v_fma_f64 v[160:161], v[52:53], v[44:45], -v[56:57]
	v_fmac_f64_e32 v[162:163], v[54:55], v[44:45]
	global_load_dwordx4 v[44:47], v[168:169], off offset:2160
	ds_read_b128 v[52:55], v180 offset:12320
	s_waitcnt vmcnt(0) lgkmcnt(0)
	;; [unrolled: 7-line block ×5, first 2 shown]
	v_mul_f64 v[48:49], v[58:59], v[54:55]
	v_fma_f64 v[60:61], v[56:57], v[52:53], -v[48:49]
	global_load_dwordx4 v[48:51], v[50:51], off offset:3376
	v_mul_f64 v[62:63], v[56:57], v[54:55]
	v_fmac_f64_e32 v[62:63], v[58:59], v[52:53]
	ds_read_b128 v[52:55], v180 offset:29920
	s_waitcnt vmcnt(0) lgkmcnt(0)
	v_mul_f64 v[56:57], v[54:55], v[50:51]
	v_mul_f64 v[58:59], v[52:53], v[50:51]
	v_fma_f64 v[56:57], v[52:53], v[48:49], -v[56:57]
	v_fmac_f64_e32 v[58:59], v[54:55], v[48:49]
	ds_write_b128 v180, v[12:15]
	ds_write_b128 v180, v[16:19] offset:4400
	ds_write_b128 v180, v[20:23] offset:8800
	;; [unrolled: 1-line block ×34, first 2 shown]
	s_waitcnt lgkmcnt(0)
	; wave barrier
	s_waitcnt lgkmcnt(0)
	ds_read_b128 v[12:15], v180 offset:4400
	ds_read_b128 v[20:23], v180 offset:26400
	s_waitcnt lgkmcnt(0)
	v_add_f64 v[16:17], v[12:13], v[20:21]
	v_add_f64 v[18:19], v[14:15], v[22:23]
	v_add_f64 v[32:33], v[12:13], -v[20:21]
	v_add_f64 v[34:35], v[14:15], -v[22:23]
	ds_read_b128 v[12:15], v180 offset:8800
	ds_read_b128 v[20:23], v180 offset:22000
	s_waitcnt lgkmcnt(0)
	v_add_f64 v[30:31], v[12:13], v[20:21]
	v_add_f64 v[28:29], v[14:15], v[22:23]
	v_add_f64 v[26:27], v[12:13], -v[20:21]
	v_add_f64 v[24:25], v[14:15], -v[22:23]
	ds_read_b128 v[12:15], v180 offset:13200
	ds_read_b128 v[20:23], v180 offset:17600
	v_add_f64 v[56:57], v[28:29], -v[18:19]
	v_add_f64 v[60:61], v[26:27], -v[32:33]
	v_add_f64 v[64:65], v[24:25], -v[34:35]
	s_waitcnt lgkmcnt(0)
	v_add_f64 v[36:37], v[12:13], v[20:21]
	v_add_f64 v[38:39], v[14:15], v[22:23]
	v_add_f64 v[40:41], v[20:21], -v[12:13]
	v_add_f64 v[42:43], v[22:23], -v[14:15]
	ds_read_b128 v[12:15], v180 offset:5280
	ds_read_b128 v[20:23], v180 offset:27280
	v_add_f64 v[58:59], v[38:39], -v[28:29]
	v_add_f64 v[62:63], v[42:43], -v[24:25]
	v_mul_f64 v[62:63], v[62:63], s[16:17]
	v_fma_f64 v[74:75], v[64:65], s[8:9], -v[62:63]
	s_waitcnt lgkmcnt(0)
	v_add_f64 v[156:157], v[12:13], v[20:21]
	v_add_f64 v[158:159], v[14:15], v[22:23]
	v_add_f64 v[160:161], v[12:13], -v[20:21]
	v_add_f64 v[162:163], v[14:15], -v[22:23]
	ds_read_b128 v[12:15], v180 offset:9680
	ds_read_b128 v[20:23], v180 offset:22880
	s_waitcnt lgkmcnt(0)
	v_add_f64 v[178:179], v[12:13], v[20:21]
	v_add_f64 v[176:177], v[14:15], v[22:23]
	v_add_f64 v[174:175], v[12:13], -v[20:21]
	v_add_f64 v[172:173], v[14:15], -v[22:23]
	ds_read_b128 v[12:15], v180 offset:14080
	ds_read_b128 v[20:23], v180 offset:18480
	;; [unrolled: 7-line block ×11, first 2 shown]
	s_waitcnt lgkmcnt(0)
	v_add_f64 v[88:89], v[12:13], v[20:21]
	v_add_f64 v[92:93], v[20:21], -v[12:13]
	v_add_f64 v[12:13], v[30:31], v[16:17]
	v_add_f64 v[52:53], v[36:37], v[12:13]
	;; [unrolled: 1-line block ×4, first 2 shown]
	v_add_f64 v[94:95], v[22:23], -v[14:15]
	v_add_f64 v[54:55], v[38:39], v[12:13]
	ds_read_b128 v[12:15], v180
	v_add_f64 v[28:29], v[40:41], v[26:27]
	v_add_f64 v[18:19], v[18:19], -v[38:39]
	v_add_f64 v[66:67], v[28:29], v[32:33]
	v_add_f64 v[38:39], v[34:35], -v[42:43]
	s_waitcnt lgkmcnt(0)
	v_add_f64 v[20:21], v[12:13], v[52:53]
	v_add_f64 v[22:23], v[14:15], v[54:55]
	v_mov_b64_e32 v[12:13], v[20:21]
	v_mov_b64_e32 v[14:15], v[22:23]
	v_fmac_f64_e32 v[12:13], s[14:15], v[52:53]
	v_fmac_f64_e32 v[14:15], s[14:15], v[54:55]
	v_add_f64 v[52:53], v[30:31], -v[16:17]
	v_add_f64 v[54:55], v[36:37], -v[30:31]
	;; [unrolled: 1-line block ×3, first 2 shown]
	v_add_f64 v[26:27], v[42:43], v[24:25]
	v_add_f64 v[16:17], v[16:17], -v[36:37]
	v_add_f64 v[68:69], v[26:27], v[34:35]
	v_mul_f64 v[70:71], v[30:31], s[16:17]
	v_mul_f64 v[24:25], v[54:55], s[0:1]
	;; [unrolled: 1-line block ×3, first 2 shown]
	v_add_f64 v[36:37], v[32:33], -v[40:41]
	v_mul_f64 v[16:17], v[16:17], s[20:21]
	v_mul_f64 v[18:19], v[18:19], s[20:21]
	;; [unrolled: 1-line block ×4, first 2 shown]
	v_fma_f64 v[24:25], v[52:53], s[18:19], -v[24:25]
	v_fma_f64 v[26:27], v[56:57], s[18:19], -v[26:27]
	;; [unrolled: 1-line block ×7, first 2 shown]
	v_add_f64 v[24:25], v[24:25], v[12:13]
	v_add_f64 v[26:27], v[26:27], v[14:15]
	v_fmac_f64_e32 v[72:73], s[2:3], v[66:67]
	v_fmac_f64_e32 v[74:75], s[2:3], v[68:69]
	v_add_f64 v[34:35], v[40:41], v[12:13]
	v_add_f64 v[40:41], v[42:43], v[14:15]
	v_fmac_f64_e32 v[52:53], s[2:3], v[66:67]
	v_fmac_f64_e32 v[32:33], s[2:3], v[68:69]
	;; [unrolled: 1-line block ×6, first 2 shown]
	v_add_f64 v[28:29], v[24:25], -v[74:75]
	v_add_f64 v[30:31], v[72:73], v[26:27]
	v_add_f64 v[24:25], v[24:25], v[74:75]
	v_add_f64 v[26:27], v[26:27], -v[72:73]
	v_add_f64 v[72:73], v[34:35], v[32:33]
	v_add_f64 v[74:75], v[40:41], -v[52:53]
	v_add_f64 v[32:33], v[34:35], -v[32:33]
	v_add_f64 v[34:35], v[52:53], v[40:41]
	v_add_f64 v[12:13], v[16:17], v[12:13]
	;; [unrolled: 1-line block ×3, first 2 shown]
	v_fmac_f64_e32 v[70:71], s[2:3], v[66:67]
	v_fmac_f64_e32 v[62:63], s[2:3], v[68:69]
	v_accvgpr_read_b32 v52, a149
	v_add_f64 v[76:77], v[12:13], v[62:63]
	v_add_f64 v[78:79], v[14:15], -v[70:71]
	v_add_f64 v[40:41], v[12:13], -v[62:63]
	v_add_f64 v[42:43], v[70:71], v[14:15]
	ds_read_b128 v[36:39], v180 offset:880
	ds_read_b128 v[16:19], v180 offset:1760
	;; [unrolled: 1-line block ×4, first 2 shown]
	s_waitcnt lgkmcnt(0)
	; wave barrier
	s_waitcnt lgkmcnt(0)
	ds_write_b128 v52, v[20:23]
	ds_write_b128 v52, v[76:79] offset:16
	ds_write_b128 v52, v[72:75] offset:32
	;; [unrolled: 1-line block ×6, first 2 shown]
	v_add_f64 v[20:21], v[178:179], v[156:157]
	v_add_f64 v[24:25], v[164:165], v[20:21]
	;; [unrolled: 1-line block ×5, first 2 shown]
	v_mov_b64_e32 v[42:43], v[22:23]
	v_add_f64 v[20:21], v[36:37], v[24:25]
	v_fmac_f64_e32 v[42:43], s[14:15], v[26:27]
	v_add_f64 v[26:27], v[168:169], -v[174:175]
	v_mov_b64_e32 v[40:41], v[20:21]
	v_add_f64 v[36:37], v[174:175], -v[160:161]
	v_mul_f64 v[60:61], v[26:27], s[16:17]
	v_fmac_f64_e32 v[40:41], s[14:15], v[24:25]
	v_add_f64 v[24:25], v[168:169], v[174:175]
	v_fma_f64 v[64:65], v[36:37], s[8:9], -v[60:61]
	v_add_f64 v[68:69], v[160:161], -v[168:169]
	v_mul_f64 v[36:37], v[36:37], s[8:9]
	v_add_f64 v[56:57], v[24:25], v[160:161]
	v_fma_f64 v[72:73], v[68:69], s[24:25], -v[36:37]
	v_fmac_f64_e32 v[60:61], s[10:11], v[68:69]
	v_fmac_f64_e32 v[64:65], s[2:3], v[56:57]
	;; [unrolled: 1-line block ×4, first 2 shown]
	scratch_load_dword v56, off, off offset:796 ; 4-byte Folded Reload
	v_add_f64 v[52:53], v[164:165], -v[178:179]
	v_add_f64 v[54:55], v[166:167], -v[176:177]
	v_add_f64 v[30:31], v[170:171], -v[172:173]
	v_add_f64 v[32:33], v[178:179], -v[156:157]
	v_add_f64 v[34:35], v[176:177], -v[158:159]
	v_add_f64 v[28:29], v[170:171], v[172:173]
	v_add_f64 v[38:39], v[172:173], -v[162:163]
	v_mul_f64 v[62:63], v[30:31], s[16:17]
	v_mul_f64 v[24:25], v[52:53], s[0:1]
	;; [unrolled: 1-line block ×3, first 2 shown]
	v_add_f64 v[58:59], v[28:29], v[162:163]
	v_fma_f64 v[24:25], v[32:33], s[18:19], -v[24:25]
	v_fma_f64 v[26:27], v[34:35], s[18:19], -v[26:27]
	;; [unrolled: 1-line block ×3, first 2 shown]
	v_add_f64 v[28:29], v[24:25], v[40:41]
	v_add_f64 v[30:31], v[26:27], v[42:43]
	v_fmac_f64_e32 v[66:67], s[2:3], v[58:59]
	v_add_f64 v[24:25], v[28:29], -v[66:67]
	v_add_f64 v[26:27], v[64:65], v[30:31]
	v_add_f64 v[28:29], v[28:29], v[66:67]
	v_add_f64 v[30:31], v[30:31], -v[64:65]
	v_add_f64 v[64:65], v[156:157], -v[164:165]
	;; [unrolled: 1-line block ×4, first 2 shown]
	v_mul_f64 v[64:65], v[64:65], s[20:21]
	v_mul_f64 v[66:67], v[66:67], s[20:21]
	;; [unrolled: 1-line block ×3, first 2 shown]
	v_fma_f64 v[32:33], v[32:33], s[22:23], -v[64:65]
	v_fma_f64 v[34:35], v[34:35], s[22:23], -v[66:67]
	;; [unrolled: 1-line block ×3, first 2 shown]
	v_fmac_f64_e32 v[64:65], s[0:1], v[52:53]
	v_fmac_f64_e32 v[66:67], s[0:1], v[54:55]
	;; [unrolled: 1-line block ×3, first 2 shown]
	v_add_f64 v[38:39], v[32:33], v[40:41]
	v_add_f64 v[74:75], v[34:35], v[42:43]
	v_fmac_f64_e32 v[36:37], s[2:3], v[58:59]
	v_add_f64 v[52:53], v[64:65], v[40:41]
	v_add_f64 v[54:55], v[66:67], v[42:43]
	v_fmac_f64_e32 v[62:63], s[2:3], v[58:59]
	v_add_f64 v[32:33], v[38:39], v[36:37]
	v_add_f64 v[34:35], v[74:75], -v[72:73]
	v_add_f64 v[36:37], v[38:39], -v[36:37]
	v_add_f64 v[38:39], v[72:73], v[74:75]
	v_add_f64 v[40:41], v[52:53], v[62:63]
	v_add_f64 v[42:43], v[54:55], -v[60:61]
	v_add_f64 v[52:53], v[52:53], -v[62:63]
	v_add_f64 v[54:55], v[60:61], v[54:55]
	s_waitcnt vmcnt(0)
	ds_write_b128 v56, v[20:23]
	ds_write_b128 v56, v[40:43] offset:16
	ds_write_b128 v56, v[32:35] offset:32
	;; [unrolled: 1-line block ×6, first 2 shown]
	v_add_f64 v[22:23], v[152:153], v[134:135]
	v_add_f64 v[22:23], v[142:143], v[22:23]
	;; [unrolled: 1-line block ×5, first 2 shown]
	v_mov_b64_e32 v[38:39], v[18:19]
	v_add_f64 v[16:17], v[16:17], v[20:21]
	v_fmac_f64_e32 v[38:39], s[14:15], v[22:23]
	v_add_f64 v[22:23], v[144:145], -v[150:151]
	v_mov_b64_e32 v[36:37], v[16:17]
	v_add_f64 v[32:33], v[150:151], -v[136:137]
	v_mul_f64 v[56:57], v[22:23], s[16:17]
	v_fmac_f64_e32 v[36:37], s[14:15], v[20:21]
	v_add_f64 v[20:21], v[144:145], v[150:151]
	v_fma_f64 v[60:61], v[32:33], s[8:9], -v[56:57]
	v_add_f64 v[64:65], v[136:137], -v[144:145]
	v_mul_f64 v[32:33], v[32:33], s[8:9]
	v_add_f64 v[52:53], v[20:21], v[136:137]
	v_fma_f64 v[68:69], v[64:65], s[24:25], -v[32:33]
	v_fmac_f64_e32 v[56:57], s[10:11], v[64:65]
	v_fmac_f64_e32 v[60:61], s[2:3], v[52:53]
	;; [unrolled: 1-line block ×4, first 2 shown]
	scratch_load_dword v52, off, off offset:728 ; 4-byte Folded Reload
	v_add_f64 v[40:41], v[140:141], -v[154:155]
	v_add_f64 v[42:43], v[142:143], -v[152:153]
	;; [unrolled: 1-line block ×5, first 2 shown]
	v_add_f64 v[24:25], v[146:147], v[148:149]
	v_add_f64 v[34:35], v[148:149], -v[138:139]
	v_mul_f64 v[58:59], v[26:27], s[16:17]
	v_mul_f64 v[20:21], v[40:41], s[0:1]
	;; [unrolled: 1-line block ×3, first 2 shown]
	v_add_f64 v[54:55], v[24:25], v[138:139]
	v_fma_f64 v[20:21], v[28:29], s[18:19], -v[20:21]
	v_fma_f64 v[22:23], v[30:31], s[18:19], -v[22:23]
	;; [unrolled: 1-line block ×3, first 2 shown]
	v_add_f64 v[24:25], v[20:21], v[36:37]
	v_add_f64 v[26:27], v[22:23], v[38:39]
	v_fmac_f64_e32 v[62:63], s[2:3], v[54:55]
	v_add_f64 v[20:21], v[24:25], -v[62:63]
	v_add_f64 v[22:23], v[60:61], v[26:27]
	v_add_f64 v[24:25], v[24:25], v[62:63]
	v_add_f64 v[26:27], v[26:27], -v[60:61]
	v_add_f64 v[60:61], v[132:133], -v[140:141]
	;; [unrolled: 1-line block ×4, first 2 shown]
	v_mul_f64 v[60:61], v[60:61], s[20:21]
	v_mul_f64 v[62:63], v[62:63], s[20:21]
	;; [unrolled: 1-line block ×3, first 2 shown]
	v_fma_f64 v[28:29], v[28:29], s[22:23], -v[60:61]
	v_fma_f64 v[30:31], v[30:31], s[22:23], -v[62:63]
	;; [unrolled: 1-line block ×3, first 2 shown]
	v_fmac_f64_e32 v[60:61], s[0:1], v[40:41]
	v_fmac_f64_e32 v[62:63], s[0:1], v[42:43]
	;; [unrolled: 1-line block ×3, first 2 shown]
	v_add_f64 v[34:35], v[28:29], v[36:37]
	v_add_f64 v[70:71], v[30:31], v[38:39]
	v_fmac_f64_e32 v[32:33], s[2:3], v[54:55]
	v_add_f64 v[40:41], v[60:61], v[36:37]
	v_add_f64 v[42:43], v[62:63], v[38:39]
	v_fmac_f64_e32 v[58:59], s[2:3], v[54:55]
	v_add_f64 v[28:29], v[34:35], v[32:33]
	v_add_f64 v[30:31], v[70:71], -v[68:69]
	v_add_f64 v[32:33], v[34:35], -v[32:33]
	v_add_f64 v[34:35], v[68:69], v[70:71]
	v_add_f64 v[36:37], v[40:41], v[58:59]
	v_add_f64 v[38:39], v[42:43], -v[56:57]
	v_add_f64 v[40:41], v[40:41], -v[58:59]
	v_add_f64 v[42:43], v[56:57], v[42:43]
	s_waitcnt vmcnt(0)
	ds_write_b128 v52, v[16:19]
	ds_write_b128 v52, v[36:39] offset:16
	ds_write_b128 v52, v[28:31] offset:32
	;; [unrolled: 1-line block ×6, first 2 shown]
	v_add_f64 v[18:19], v[128:129], v[110:111]
	v_add_f64 v[18:19], v[118:119], v[18:19]
	;; [unrolled: 1-line block ×5, first 2 shown]
	v_mov_b64_e32 v[34:35], v[14:15]
	v_add_f64 v[12:13], v[12:13], v[16:17]
	v_fmac_f64_e32 v[34:35], s[14:15], v[18:19]
	v_add_f64 v[18:19], v[120:121], -v[126:127]
	v_mov_b64_e32 v[32:33], v[12:13]
	v_add_f64 v[28:29], v[126:127], -v[112:113]
	v_mul_f64 v[52:53], v[18:19], s[16:17]
	v_fmac_f64_e32 v[32:33], s[14:15], v[16:17]
	v_add_f64 v[16:17], v[120:121], v[126:127]
	v_fma_f64 v[56:57], v[28:29], s[8:9], -v[52:53]
	v_add_f64 v[60:61], v[112:113], -v[120:121]
	v_mul_f64 v[28:29], v[28:29], s[8:9]
	v_add_f64 v[40:41], v[16:17], v[112:113]
	v_fma_f64 v[64:65], v[60:61], s[24:25], -v[28:29]
	v_fmac_f64_e32 v[52:53], s[10:11], v[60:61]
	v_fmac_f64_e32 v[56:57], s[2:3], v[40:41]
	;; [unrolled: 1-line block ×4, first 2 shown]
	scratch_load_dword v40, off, off offset:480 ; 4-byte Folded Reload
	v_add_f64 v[36:37], v[116:117], -v[130:131]
	v_add_f64 v[38:39], v[118:119], -v[128:129]
	;; [unrolled: 1-line block ×5, first 2 shown]
	v_add_f64 v[20:21], v[122:123], v[124:125]
	v_add_f64 v[30:31], v[124:125], -v[114:115]
	v_mul_f64 v[54:55], v[22:23], s[16:17]
	v_mul_f64 v[16:17], v[36:37], s[0:1]
	;; [unrolled: 1-line block ×3, first 2 shown]
	v_add_f64 v[42:43], v[20:21], v[114:115]
	v_fma_f64 v[16:17], v[24:25], s[18:19], -v[16:17]
	v_fma_f64 v[18:19], v[26:27], s[18:19], -v[18:19]
	;; [unrolled: 1-line block ×3, first 2 shown]
	v_add_f64 v[20:21], v[16:17], v[32:33]
	v_add_f64 v[22:23], v[18:19], v[34:35]
	v_fmac_f64_e32 v[58:59], s[2:3], v[42:43]
	v_add_f64 v[16:17], v[20:21], -v[58:59]
	v_add_f64 v[18:19], v[56:57], v[22:23]
	v_add_f64 v[20:21], v[20:21], v[58:59]
	v_add_f64 v[22:23], v[22:23], -v[56:57]
	v_add_f64 v[56:57], v[108:109], -v[116:117]
	;; [unrolled: 1-line block ×4, first 2 shown]
	v_mul_f64 v[56:57], v[56:57], s[20:21]
	v_mul_f64 v[58:59], v[58:59], s[20:21]
	;; [unrolled: 1-line block ×3, first 2 shown]
	v_fma_f64 v[24:25], v[24:25], s[22:23], -v[56:57]
	v_fma_f64 v[26:27], v[26:27], s[22:23], -v[58:59]
	;; [unrolled: 1-line block ×3, first 2 shown]
	v_fmac_f64_e32 v[56:57], s[0:1], v[36:37]
	v_fmac_f64_e32 v[58:59], s[0:1], v[38:39]
	;; [unrolled: 1-line block ×3, first 2 shown]
	v_add_f64 v[30:31], v[24:25], v[32:33]
	v_add_f64 v[66:67], v[26:27], v[34:35]
	v_fmac_f64_e32 v[28:29], s[2:3], v[42:43]
	v_add_f64 v[36:37], v[56:57], v[32:33]
	v_add_f64 v[38:39], v[58:59], v[34:35]
	v_fmac_f64_e32 v[54:55], s[2:3], v[42:43]
	v_add_f64 v[24:25], v[30:31], v[28:29]
	v_add_f64 v[26:27], v[66:67], -v[64:65]
	v_add_f64 v[28:29], v[30:31], -v[28:29]
	v_add_f64 v[30:31], v[64:65], v[66:67]
	v_add_f64 v[32:33], v[36:37], v[54:55]
	v_add_f64 v[34:35], v[38:39], -v[52:53]
	v_add_f64 v[36:37], v[36:37], -v[54:55]
	v_add_f64 v[38:39], v[52:53], v[38:39]
	s_waitcnt vmcnt(0)
	ds_write_b128 v40, v[12:15]
	ds_write_b128 v40, v[32:35] offset:16
	ds_write_b128 v40, v[24:27] offset:32
	;; [unrolled: 1-line block ×6, first 2 shown]
	v_add_f64 v[14:15], v[104:105], v[46:47]
	v_add_f64 v[12:13], v[106:107], v[44:45]
	;; [unrolled: 1-line block ×6, first 2 shown]
	v_mov_b64_e32 v[18:19], v[22:23]
	v_add_f64 v[38:39], v[90:91], -v[104:105]
	v_add_f64 v[26:27], v[92:93], -v[102:103]
	v_mov_b64_e32 v[16:17], v[20:21]
	v_fmac_f64_e32 v[18:19], s[14:15], v[14:15]
	v_add_f64 v[14:15], v[104:105], -v[46:47]
	v_add_f64 v[24:25], v[92:93], v[102:103]
	v_add_f64 v[32:33], v[102:103], -v[48:49]
	v_mul_f64 v[52:53], v[26:27], s[16:17]
	v_mul_f64 v[26:27], v[38:39], s[0:1]
	v_fmac_f64_e32 v[16:17], s[14:15], v[12:13]
	v_add_f64 v[12:13], v[106:107], -v[44:45]
	v_add_f64 v[36:37], v[88:89], -v[106:107]
	;; [unrolled: 1-line block ×3, first 2 shown]
	v_add_f64 v[40:41], v[24:25], v[48:49]
	v_fma_f64 v[26:27], v[14:15], s[18:19], -v[26:27]
	v_fma_f64 v[56:57], v[32:33], s[8:9], -v[52:53]
	v_add_f64 v[44:45], v[44:45], -v[88:89]
	v_mul_f64 v[54:55], v[30:31], s[16:17]
	v_mul_f64 v[24:25], v[36:37], s[0:1]
	v_add_f64 v[30:31], v[26:27], v[18:19]
	v_fmac_f64_e32 v[56:57], s[2:3], v[40:41]
	v_add_f64 v[48:49], v[48:49], -v[92:93]
	v_mul_f64 v[44:45], v[44:45], s[20:21]
	v_mul_f64 v[32:33], v[32:33], s[8:9]
	v_fma_f64 v[24:25], v[12:13], s[18:19], -v[24:25]
	v_add_f64 v[26:27], v[56:57], v[30:31]
	v_add_f64 v[30:31], v[30:31], -v[56:57]
	v_fma_f64 v[12:13], v[12:13], s[22:23], -v[44:45]
	v_fma_f64 v[56:57], v[48:49], s[24:25], -v[32:33]
	v_fma_f64 v[36:37], s[0:1], v[36:37], v[44:45]
	v_fma_f64 v[44:45], s[10:11], v[48:49], v[52:53]
	v_fmac_f64_e32 v[56:57], s[2:3], v[40:41]
	v_fmac_f64_e32 v[44:45], s[2:3], v[40:41]
	scratch_load_dword v40, off, off offset:660 ; 4-byte Folded Reload
	v_add_f64 v[28:29], v[94:95], v[100:101]
	v_add_f64 v[34:35], v[100:101], -v[50:51]
	v_add_f64 v[42:43], v[28:29], v[50:51]
	v_fma_f64 v[58:59], v[34:35], s[8:9], -v[54:55]
	v_add_f64 v[46:47], v[46:47], -v[90:91]
	v_add_f64 v[28:29], v[24:25], v[16:17]
	v_fmac_f64_e32 v[58:59], s[2:3], v[42:43]
	v_add_f64 v[50:51], v[50:51], -v[94:95]
	v_mul_f64 v[46:47], v[46:47], s[20:21]
	v_mul_f64 v[34:35], v[34:35], s[8:9]
	v_add_f64 v[24:25], v[28:29], -v[58:59]
	v_add_f64 v[28:29], v[28:29], v[58:59]
	v_fma_f64 v[14:15], v[14:15], s[22:23], -v[46:47]
	v_fma_f64 v[58:59], v[50:51], s[24:25], -v[34:35]
	v_fmac_f64_e32 v[46:47], s[0:1], v[38:39]
	v_fmac_f64_e32 v[54:55], s[10:11], v[50:51]
	v_add_f64 v[12:13], v[12:13], v[16:17]
	v_add_f64 v[14:15], v[14:15], v[18:19]
	v_fmac_f64_e32 v[58:59], s[2:3], v[42:43]
	v_add_f64 v[16:17], v[36:37], v[16:17]
	v_add_f64 v[18:19], v[46:47], v[18:19]
	v_fmac_f64_e32 v[54:55], s[2:3], v[42:43]
	v_add_f64 v[32:33], v[12:13], v[58:59]
	v_add_f64 v[34:35], v[14:15], -v[56:57]
	v_add_f64 v[36:37], v[16:17], v[54:55]
	v_add_f64 v[38:39], v[18:19], -v[44:45]
	v_add_f64 v[12:13], v[12:13], -v[58:59]
	v_add_f64 v[14:15], v[56:57], v[14:15]
	v_add_f64 v[16:17], v[16:17], -v[54:55]
	v_add_f64 v[18:19], v[44:45], v[18:19]
	s_waitcnt vmcnt(0)
	ds_write_b128 v40, v[20:23]
	ds_write_b128 v40, v[36:39] offset:16
	ds_write_b128 v40, v[32:35] offset:32
	;; [unrolled: 1-line block ×6, first 2 shown]
	s_waitcnt lgkmcnt(0)
	; wave barrier
	s_waitcnt lgkmcnt(0)
	ds_read_b128 v[32:35], v180
	ds_read_b128 v[48:51], v180 offset:2800
	ds_read_b128 v[44:47], v180 offset:5600
	;; [unrolled: 1-line block ×32, first 2 shown]
	s_and_saveexec_b64 s[0:1], vcc
	s_cbranch_execz .LBB0_7
; %bb.6:
	ds_read_b128 v[12:15], v180 offset:2640
	ds_read_b128 v[16:19], v180 offset:5440
	;; [unrolled: 1-line block ×11, first 2 shown]
.LBB0_7:
	s_or_b64 exec, exec, s[0:1]
	scratch_load_dwordx4 v[52:55], off, off offset:628 ; 16-byte Folded Reload
	s_mov_b32 s2, 0xf8bb580b
	s_mov_b32 s10, 0x8eee2c13
	;; [unrolled: 1-line block ×28, first 2 shown]
	scratch_load_dwordx4 v[56:59], off, off offset:832 ; 16-byte Folded Reload
	s_waitcnt vmcnt(1) lgkmcnt(14)
	v_mul_f64 v[218:219], v[54:55], v[50:51]
	v_fmac_f64_e32 v[218:219], v[52:53], v[48:49]
	v_mul_f64 v[48:49], v[54:55], v[48:49]
	v_fma_f64 v[204:205], v[52:53], v[50:51], -v[48:49]
	scratch_load_dwordx4 v[48:51], off, off offset:612 ; 16-byte Folded Reload
	s_waitcnt vmcnt(0)
	v_mul_f64 v[192:193], v[50:51], v[46:47]
	v_fmac_f64_e32 v[192:193], v[48:49], v[44:45]
	v_mul_f64 v[44:45], v[50:51], v[44:45]
	v_fma_f64 v[194:195], v[48:49], v[46:47], -v[44:45]
	scratch_load_dwordx4 v[46:49], off, off offset:596 ; 16-byte Folded Reload
	s_waitcnt vmcnt(0)
	v_mul_f64 v[184:185], v[48:49], v[178:179]
	v_mul_f64 v[44:45], v[48:49], v[176:177]
	v_fmac_f64_e32 v[184:185], v[46:47], v[176:177]
	v_fma_f64 v[186:187], v[46:47], v[178:179], -v[44:45]
	scratch_load_dwordx4 v[46:49], off, off offset:580 ; 16-byte Folded Reload
	s_waitcnt vmcnt(0)
	v_mul_f64 v[96:97], v[48:49], v[174:175]
	v_mul_f64 v[44:45], v[48:49], v[172:173]
	v_fmac_f64_e32 v[96:97], v[46:47], v[172:173]
	;; [unrolled: 6-line block ×11, first 2 shown]
	v_fma_f64 v[182:183], v[46:47], v[150:151], -v[44:45]
	scratch_load_dwordx4 v[46:49], off, off offset:800 ; 16-byte Folded Reload
	s_waitcnt vmcnt(0)
	v_mul_f64 v[120:121], v[48:49], v[154:155]
	v_mul_f64 v[44:45], v[48:49], v[152:153]
	scratch_load_dwordx4 v[48:51], off, off offset:816 ; 16-byte Folded Reload
	v_fmac_f64_e32 v[120:121], v[46:47], v[152:153]
	v_fma_f64 v[122:123], v[46:47], v[154:155], -v[44:45]
	s_waitcnt vmcnt(0)
	v_mul_f64 v[44:45], v[50:51], v[138:139]
	v_mul_f64 v[46:47], v[50:51], v[136:137]
	v_fmac_f64_e32 v[44:45], v[48:49], v[136:137]
	v_fma_f64 v[46:47], v[48:49], v[138:139], -v[46:47]
	scratch_load_dwordx4 v[136:139], off, off offset:848 ; 16-byte Folded Reload
	v_mul_f64 v[48:49], v[58:59], v[142:143]
	v_mul_f64 v[50:51], v[58:59], v[140:141]
	v_fmac_f64_e32 v[48:49], v[56:57], v[140:141]
	v_fma_f64 v[50:51], v[56:57], v[142:143], -v[50:51]
	s_waitcnt vmcnt(0)
	v_mul_f64 v[132:133], v[138:139], v[126:127]
	v_mul_f64 v[56:57], v[138:139], v[124:125]
	v_fmac_f64_e32 v[132:133], v[136:137], v[124:125]
	v_fma_f64 v[124:125], v[136:137], v[126:127], -v[56:57]
	scratch_load_dwordx4 v[136:139], off, off offset:864 ; 16-byte Folded Reload
	s_waitcnt lgkmcnt(0)
	; wave barrier
	s_waitcnt vmcnt(0) lgkmcnt(0)
	v_mul_f64 v[126:127], v[138:139], v[130:131]
	v_mul_f64 v[56:57], v[138:139], v[128:129]
	v_fmac_f64_e32 v[126:127], v[136:137], v[128:129]
	v_fma_f64 v[128:129], v[136:137], v[130:131], -v[56:57]
	v_accvgpr_read_b32 v139, a15
	v_accvgpr_read_b32 v138, a14
	v_accvgpr_read_b32 v137, a13
	v_accvgpr_read_b32 v136, a12
	v_mul_f64 v[130:131], v[138:139], v[110:111]
	v_mul_f64 v[56:57], v[138:139], v[108:109]
	v_fmac_f64_e32 v[130:131], v[136:137], v[108:109]
	v_fma_f64 v[136:137], v[136:137], v[110:111], -v[56:57]
	v_accvgpr_read_b32 v111, a11
	v_accvgpr_read_b32 v110, a10
	v_accvgpr_read_b32 v109, a9
	v_accvgpr_read_b32 v108, a8
	;; [unrolled: 8-line block ×4, first 2 shown]
	v_mul_f64 v[56:57], v[110:111], v[106:107]
	v_fmac_f64_e32 v[56:57], v[108:109], v[104:105]
	v_mul_f64 v[58:59], v[110:111], v[104:105]
	v_accvgpr_read_b32 v105, a23
	v_accvgpr_read_b32 v104, a22
	v_accvgpr_read_b32 v103, a21
	v_accvgpr_read_b32 v102, a20
	v_mul_f64 v[160:161], v[104:105], v[94:95]
	v_fmac_f64_e32 v[160:161], v[102:103], v[92:93]
	v_mul_f64 v[92:93], v[104:105], v[92:93]
	v_fma_f64 v[162:163], v[102:103], v[94:95], -v[92:93]
	v_accvgpr_read_b32 v95, a19
	v_accvgpr_read_b32 v94, a18
	v_accvgpr_read_b32 v93, a17
	v_accvgpr_read_b32 v92, a16
	v_mul_f64 v[152:153], v[94:95], v[90:91]
	v_fmac_f64_e32 v[152:153], v[92:93], v[88:89]
	v_mul_f64 v[88:89], v[94:95], v[88:89]
	v_fma_f64 v[154:155], v[92:93], v[90:91], -v[88:89]
	;; [unrolled: 8-line block ×8, first 2 shown]
	v_add_f64 v[30:31], v[34:35], v[204:205]
	v_add_f64 v[30:31], v[30:31], v[194:195]
	;; [unrolled: 1-line block ×8, first 2 shown]
	v_add_f64 v[42:43], v[204:205], -v[100:101]
	v_add_f64 v[30:31], v[30:31], v[198:199]
	v_add_f64 v[36:37], v[218:219], v[206:207]
	;; [unrolled: 1-line block ×3, first 2 shown]
	v_mul_f64 v[72:73], v[42:43], s[2:3]
	v_mul_f64 v[80:81], v[42:43], s[10:11]
	;; [unrolled: 1-line block ×5, first 2 shown]
	v_fma_f64 v[58:59], v[108:109], v[106:107], -v[58:59]
	v_add_f64 v[30:31], v[30:31], v[100:101]
	v_add_f64 v[40:41], v[218:219], -v[206:207]
	v_fma_f64 v[74:75], s[0:1], v[36:37], v[72:73]
	v_mul_f64 v[76:77], v[38:39], s[0:1]
	v_fma_f64 v[72:73], v[36:37], s[0:1], -v[72:73]
	v_fma_f64 v[82:83], s[8:9], v[36:37], v[80:81]
	v_mul_f64 v[88:89], v[38:39], s[8:9]
	v_fma_f64 v[80:81], v[36:37], s[8:9], -v[80:81]
	;; [unrolled: 3-line block ×5, first 2 shown]
	v_add_f64 v[42:43], v[194:195], -v[198:199]
	v_add_f64 v[28:29], v[32:33], v[218:219]
	v_add_f64 v[74:75], v[32:33], v[74:75]
	v_fma_f64 v[78:79], s[24:25], v[40:41], v[76:77]
	v_add_f64 v[72:73], v[32:33], v[72:73]
	v_fmac_f64_e32 v[76:77], s[2:3], v[40:41]
	v_add_f64 v[82:83], v[32:33], v[82:83]
	v_fma_f64 v[90:91], s[30:31], v[40:41], v[88:89]
	v_add_f64 v[80:81], v[32:33], v[80:81]
	v_fmac_f64_e32 v[88:89], s[10:11], v[40:41]
	;; [unrolled: 4-line block ×5, first 2 shown]
	v_add_f64 v[36:37], v[192:193], v[196:197]
	v_mul_f64 v[118:119], v[42:43], s[10:11]
	v_add_f64 v[78:79], v[34:35], v[78:79]
	v_add_f64 v[76:77], v[34:35], v[76:77]
	;; [unrolled: 1-line block ×11, first 2 shown]
	v_fma_f64 v[140:141], s[8:9], v[36:37], v[118:119]
	v_add_f64 v[40:41], v[192:193], -v[196:197]
	v_add_f64 v[74:75], v[140:141], v[74:75]
	v_mul_f64 v[140:141], v[38:39], s[8:9]
	v_fma_f64 v[118:119], v[36:37], s[8:9], -v[118:119]
	v_fma_f64 v[142:143], s[30:31], v[40:41], v[140:141]
	v_add_f64 v[72:73], v[118:119], v[72:73]
	v_fmac_f64_e32 v[140:141], s[10:11], v[40:41]
	v_mul_f64 v[118:119], v[42:43], s[20:21]
	v_add_f64 v[76:77], v[140:141], v[76:77]
	v_fma_f64 v[140:141], s[18:19], v[36:37], v[118:119]
	v_add_f64 v[82:83], v[140:141], v[82:83]
	v_mul_f64 v[140:141], v[38:39], s[18:19]
	v_fma_f64 v[118:119], v[36:37], s[18:19], -v[118:119]
	v_add_f64 v[78:79], v[142:143], v[78:79]
	v_fma_f64 v[142:143], s[36:37], v[40:41], v[140:141]
	v_add_f64 v[80:81], v[118:119], v[80:81]
	v_fmac_f64_e32 v[140:141], s[20:21], v[40:41]
	v_mul_f64 v[118:119], v[42:43], s[34:35]
	v_add_f64 v[88:89], v[140:141], v[88:89]
	v_fma_f64 v[140:141], s[22:23], v[36:37], v[118:119]
	v_add_f64 v[94:95], v[140:141], v[94:95]
	v_mul_f64 v[140:141], v[38:39], s[22:23]
	v_fma_f64 v[118:119], v[36:37], s[22:23], -v[118:119]
	v_add_f64 v[90:91], v[142:143], v[90:91]
	v_fma_f64 v[142:143], s[26:27], v[40:41], v[140:141]
	v_add_f64 v[92:93], v[118:119], v[92:93]
	v_fmac_f64_e32 v[140:141], s[34:35], v[40:41]
	v_mul_f64 v[118:119], v[42:43], s[28:29]
	v_add_f64 v[100:101], v[140:141], v[100:101]
	v_fma_f64 v[140:141], s[14:15], v[36:37], v[118:119]
	v_fma_f64 v[118:119], v[36:37], s[14:15], -v[118:119]
	v_mul_f64 v[42:43], v[42:43], s[24:25]
	v_add_f64 v[106:107], v[140:141], v[106:107]
	v_mul_f64 v[140:141], v[38:39], s[14:15]
	v_add_f64 v[104:105], v[118:119], v[104:105]
	v_fma_f64 v[118:119], s[0:1], v[36:37], v[42:43]
	v_mul_f64 v[38:39], v[38:39], s[0:1]
	v_add_f64 v[114:115], v[118:119], v[114:115]
	v_fma_f64 v[118:119], s[2:3], v[40:41], v[38:39]
	v_fma_f64 v[36:37], v[36:37], s[0:1], -v[42:43]
	v_add_f64 v[42:43], v[186:187], -v[190:191]
	v_add_f64 v[102:103], v[142:143], v[102:103]
	v_fma_f64 v[142:143], s[16:17], v[40:41], v[140:141]
	v_fmac_f64_e32 v[140:141], s[28:29], v[40:41]
	v_add_f64 v[116:117], v[118:119], v[116:117]
	v_add_f64 v[32:33], v[36:37], v[32:33]
	v_fmac_f64_e32 v[38:39], s[24:25], v[40:41]
	v_add_f64 v[36:37], v[184:185], v[188:189]
	v_mul_f64 v[118:119], v[42:43], s[16:17]
	v_add_f64 v[108:109], v[140:141], v[108:109]
	v_add_f64 v[34:35], v[38:39], v[34:35]
	v_add_f64 v[38:39], v[186:187], v[190:191]
	v_fma_f64 v[140:141], s[14:15], v[36:37], v[118:119]
	v_add_f64 v[40:41], v[184:185], -v[188:189]
	v_add_f64 v[74:75], v[140:141], v[74:75]
	v_mul_f64 v[140:141], v[38:39], s[14:15]
	v_fma_f64 v[118:119], v[36:37], s[14:15], -v[118:119]
	v_add_f64 v[110:111], v[142:143], v[110:111]
	v_fma_f64 v[142:143], s[28:29], v[40:41], v[140:141]
	v_add_f64 v[72:73], v[118:119], v[72:73]
	v_fmac_f64_e32 v[140:141], s[16:17], v[40:41]
	v_mul_f64 v[118:119], v[42:43], s[34:35]
	v_add_f64 v[76:77], v[140:141], v[76:77]
	v_fma_f64 v[140:141], s[22:23], v[36:37], v[118:119]
	v_add_f64 v[82:83], v[140:141], v[82:83]
	v_mul_f64 v[140:141], v[38:39], s[22:23]
	v_fma_f64 v[118:119], v[36:37], s[22:23], -v[118:119]
	v_add_f64 v[78:79], v[142:143], v[78:79]
	v_fma_f64 v[142:143], s[26:27], v[40:41], v[140:141]
	v_add_f64 v[80:81], v[118:119], v[80:81]
	v_fmac_f64_e32 v[140:141], s[34:35], v[40:41]
	v_mul_f64 v[118:119], v[42:43], s[30:31]
	v_add_f64 v[28:29], v[28:29], v[192:193]
	v_add_f64 v[88:89], v[140:141], v[88:89]
	v_fma_f64 v[140:141], s[8:9], v[36:37], v[118:119]
	v_add_f64 v[28:29], v[28:29], v[184:185]
	v_add_f64 v[94:95], v[140:141], v[94:95]
	v_mul_f64 v[140:141], v[38:39], s[8:9]
	v_fma_f64 v[118:119], v[36:37], s[8:9], -v[118:119]
	v_add_f64 v[28:29], v[28:29], v[96:97]
	v_add_f64 v[90:91], v[142:143], v[90:91]
	v_fma_f64 v[142:143], s[10:11], v[40:41], v[140:141]
	v_add_f64 v[92:93], v[118:119], v[92:93]
	v_fmac_f64_e32 v[140:141], s[30:31], v[40:41]
	v_mul_f64 v[118:119], v[42:43], s[2:3]
	v_add_f64 v[28:29], v[28:29], v[68:69]
	v_add_f64 v[100:101], v[140:141], v[100:101]
	v_fma_f64 v[140:141], s[0:1], v[36:37], v[118:119]
	v_fma_f64 v[118:119], v[36:37], s[0:1], -v[118:119]
	v_mul_f64 v[42:43], v[42:43], s[20:21]
	v_add_f64 v[28:29], v[28:29], v[84:85]
	v_add_f64 v[106:107], v[140:141], v[106:107]
	v_mul_f64 v[140:141], v[38:39], s[0:1]
	v_add_f64 v[104:105], v[118:119], v[104:105]
	v_fma_f64 v[118:119], s[18:19], v[36:37], v[42:43]
	v_mul_f64 v[38:39], v[38:39], s[18:19]
	v_fma_f64 v[36:37], v[36:37], s[18:19], -v[42:43]
	v_add_f64 v[42:43], v[98:99], -v[54:55]
	v_add_f64 v[28:29], v[28:29], v[52:53]
	v_add_f64 v[102:103], v[142:143], v[102:103]
	v_fma_f64 v[142:143], s[24:25], v[40:41], v[140:141]
	v_fmac_f64_e32 v[140:141], s[2:3], v[40:41]
	v_add_f64 v[114:115], v[118:119], v[114:115]
	v_fma_f64 v[118:119], s[36:37], v[40:41], v[38:39]
	v_add_f64 v[32:33], v[36:37], v[32:33]
	v_fmac_f64_e32 v[38:39], s[20:21], v[40:41]
	v_add_f64 v[36:37], v[96:97], v[52:53]
	v_add_f64 v[40:41], v[96:97], -v[52:53]
	v_mul_f64 v[52:53], v[42:43], s[20:21]
	v_add_f64 v[34:35], v[38:39], v[34:35]
	v_add_f64 v[38:39], v[98:99], v[54:55]
	v_fma_f64 v[54:55], s[18:19], v[36:37], v[52:53]
	v_add_f64 v[54:55], v[54:55], v[74:75]
	v_mul_f64 v[74:75], v[38:39], s[18:19]
	v_fma_f64 v[96:97], s[36:37], v[40:41], v[74:75]
	v_fma_f64 v[52:53], v[36:37], s[18:19], -v[52:53]
	v_fmac_f64_e32 v[74:75], s[20:21], v[40:41]
	v_add_f64 v[52:53], v[52:53], v[72:73]
	v_add_f64 v[72:73], v[74:75], v[76:77]
	v_mul_f64 v[74:75], v[42:43], s[28:29]
	v_fma_f64 v[76:77], s[14:15], v[36:37], v[74:75]
	v_add_f64 v[76:77], v[76:77], v[82:83]
	v_mul_f64 v[82:83], v[38:39], s[14:15]
	v_add_f64 v[78:79], v[96:97], v[78:79]
	v_fma_f64 v[96:97], s[16:17], v[40:41], v[82:83]
	v_fma_f64 v[74:75], v[36:37], s[14:15], -v[74:75]
	v_fmac_f64_e32 v[82:83], s[28:29], v[40:41]
	v_add_f64 v[74:75], v[74:75], v[80:81]
	v_add_f64 v[80:81], v[82:83], v[88:89]
	v_mul_f64 v[82:83], v[42:43], s[2:3]
	v_fma_f64 v[88:89], s[0:1], v[36:37], v[82:83]
	v_fma_f64 v[82:83], v[36:37], s[0:1], -v[82:83]
	v_add_f64 v[88:89], v[88:89], v[94:95]
	v_mul_f64 v[94:95], v[38:39], s[0:1]
	v_add_f64 v[92:93], v[82:83], v[92:93]
	v_mul_f64 v[82:83], v[42:43], s[26:27]
	v_add_f64 v[90:91], v[96:97], v[90:91]
	v_fma_f64 v[96:97], s[24:25], v[40:41], v[94:95]
	v_fmac_f64_e32 v[94:95], s[2:3], v[40:41]
	v_fma_f64 v[98:99], s[22:23], v[36:37], v[82:83]
	v_fma_f64 v[82:83], v[36:37], s[22:23], -v[82:83]
	v_mul_f64 v[42:43], v[42:43], s[30:31]
	v_add_f64 v[94:95], v[94:95], v[100:101]
	v_mul_f64 v[100:101], v[38:39], s[22:23]
	v_add_f64 v[104:105], v[82:83], v[104:105]
	v_fma_f64 v[82:83], s[8:9], v[36:37], v[42:43]
	v_mul_f64 v[38:39], v[38:39], s[8:9]
	v_add_f64 v[110:111], v[142:143], v[110:111]
	v_add_f64 v[108:109], v[140:141], v[108:109]
	;; [unrolled: 1-line block ×5, first 2 shown]
	v_fma_f64 v[102:103], s[34:35], v[40:41], v[100:101]
	v_fmac_f64_e32 v[100:101], s[26:27], v[40:41]
	v_add_f64 v[106:107], v[82:83], v[114:115]
	v_fma_f64 v[82:83], s[10:11], v[40:41], v[38:39]
	v_fma_f64 v[36:37], v[36:37], s[8:9], -v[42:43]
	v_add_f64 v[118:119], v[70:71], v[86:87]
	v_add_f64 v[70:71], v[70:71], -v[86:87]
	v_add_f64 v[102:103], v[102:103], v[110:111]
	v_add_f64 v[100:101], v[100:101], v[108:109]
	v_add_f64 v[108:109], v[82:83], v[116:117]
	v_add_f64 v[110:111], v[36:37], v[32:33]
	v_fmac_f64_e32 v[38:39], s[30:31], v[40:41]
	v_add_f64 v[116:117], v[68:69], v[84:85]
	v_mul_f64 v[32:33], v[70:71], s[26:27]
	v_add_f64 v[114:115], v[38:39], v[34:35]
	v_fma_f64 v[34:35], s[22:23], v[116:117], v[32:33]
	v_add_f64 v[68:69], v[68:69], -v[84:85]
	v_add_f64 v[40:41], v[34:35], v[54:55]
	v_mul_f64 v[34:35], v[118:119], s[22:23]
	v_fma_f64 v[36:37], s[34:35], v[68:69], v[34:35]
	v_add_f64 v[42:43], v[36:37], v[78:79]
	v_mul_f64 v[36:37], v[70:71], s[24:25]
	v_fma_f64 v[38:39], s[0:1], v[116:117], v[36:37]
	v_fma_f64 v[32:33], v[116:117], s[22:23], -v[32:33]
	v_add_f64 v[76:77], v[38:39], v[76:77]
	v_mul_f64 v[38:39], v[118:119], s[0:1]
	v_add_f64 v[32:33], v[32:33], v[52:53]
	v_fma_f64 v[52:53], s[2:3], v[68:69], v[38:39]
	v_add_f64 v[78:79], v[52:53], v[90:91]
	v_mul_f64 v[52:53], v[70:71], s[20:21]
	v_fmac_f64_e32 v[38:39], s[24:25], v[68:69]
	v_fma_f64 v[54:55], s[18:19], v[116:117], v[52:53]
	v_fmac_f64_e32 v[34:35], s[26:27], v[68:69]
	v_add_f64 v[38:39], v[38:39], v[80:81]
	v_add_f64 v[80:81], v[54:55], v[88:89]
	v_mul_f64 v[54:55], v[118:119], s[18:19]
	v_add_f64 v[34:35], v[34:35], v[72:73]
	v_fma_f64 v[72:73], s[36:37], v[68:69], v[54:55]
	v_fma_f64 v[52:53], v[116:117], s[18:19], -v[52:53]
	v_fma_f64 v[36:37], v[116:117], s[0:1], -v[36:37]
	v_add_f64 v[82:83], v[72:73], v[96:97]
	v_add_f64 v[72:73], v[52:53], v[92:93]
	v_fmac_f64_e32 v[54:55], s[20:21], v[68:69]
	v_mul_f64 v[52:53], v[70:71], s[30:31]
	v_add_f64 v[36:37], v[36:37], v[74:75]
	v_add_f64 v[74:75], v[54:55], v[94:95]
	v_fma_f64 v[54:55], s[8:9], v[116:117], v[52:53]
	v_add_f64 v[92:93], v[54:55], v[98:99]
	v_mul_f64 v[54:55], v[118:119], s[8:9]
	v_fma_f64 v[52:53], v[116:117], s[8:9], -v[52:53]
	v_fma_f64 v[84:85], s[10:11], v[68:69], v[54:55]
	v_add_f64 v[88:89], v[52:53], v[104:105]
	v_fmac_f64_e32 v[54:55], s[30:31], v[68:69]
	v_mul_f64 v[52:53], v[70:71], s[16:17]
	v_add_f64 v[90:91], v[54:55], v[100:101]
	v_fma_f64 v[54:55], s[14:15], v[116:117], v[52:53]
	v_add_f64 v[100:101], v[54:55], v[106:107]
	v_mul_f64 v[54:55], v[118:119], s[14:15]
	v_fma_f64 v[70:71], s[28:29], v[68:69], v[54:55]
	v_fmac_f64_e32 v[54:55], s[16:17], v[68:69]
	v_fma_f64 v[52:53], v[116:117], s[14:15], -v[52:53]
	v_add_f64 v[106:107], v[54:55], v[114:115]
	v_add_f64 v[54:55], v[26:27], v[66:67]
	;; [unrolled: 1-line block ×26, first 2 shown]
	v_add_f64 v[64:65], v[64:65], -v[138:139]
	v_add_f64 v[66:67], v[66:67], -v[112:113]
	v_mul_f64 v[84:85], v[54:55], s[0:1]
	v_mul_f64 v[112:113], v[54:55], s[8:9]
	;; [unrolled: 1-line block ×5, first 2 shown]
	v_add_f64 v[28:29], v[28:29], v[188:189]
	v_mul_f64 v[68:69], v[66:67], s[2:3]
	v_fma_f64 v[86:87], s[24:25], v[64:65], v[84:85]
	v_fmac_f64_e32 v[84:85], s[2:3], v[64:65]
	v_mul_f64 v[96:97], v[66:67], s[10:11]
	v_fma_f64 v[114:115], s[30:31], v[64:65], v[112:113]
	v_fmac_f64_e32 v[112:113], s[10:11], v[64:65]
	v_mul_f64 v[116:117], v[66:67], s[16:17]
	v_fma_f64 v[140:141], s[28:29], v[64:65], v[138:139]
	v_fmac_f64_e32 v[138:139], s[16:17], v[64:65]
	v_mul_f64 v[142:143], v[66:67], s[20:21]
	v_fma_f64 v[188:189], s[36:37], v[64:65], v[186:187]
	v_fmac_f64_e32 v[186:187], s[20:21], v[64:65]
	v_mul_f64 v[66:67], v[66:67], s[26:27]
	v_fma_f64 v[192:193], s[34:35], v[64:65], v[54:55]
	v_fmac_f64_e32 v[54:55], s[26:27], v[64:65]
	v_fma_f64 v[70:71], s[0:1], v[52:53], v[68:69]
	v_add_f64 v[86:87], v[26:27], v[86:87]
	v_fma_f64 v[68:69], v[52:53], s[0:1], -v[68:69]
	v_add_f64 v[84:85], v[26:27], v[84:85]
	v_fma_f64 v[98:99], s[8:9], v[52:53], v[96:97]
	v_add_f64 v[114:115], v[26:27], v[114:115]
	v_fma_f64 v[96:97], v[52:53], s[8:9], -v[96:97]
	v_add_f64 v[112:113], v[26:27], v[112:113]
	;; [unrolled: 4-line block ×5, first 2 shown]
	v_add_f64 v[54:55], v[62:63], v[136:137]
	v_add_f64 v[62:63], v[62:63], -v[136:137]
	v_add_f64 v[70:71], v[24:25], v[70:71]
	v_add_f64 v[68:69], v[24:25], v[68:69]
	;; [unrolled: 1-line block ×11, first 2 shown]
	v_mul_f64 v[64:65], v[62:63], s[10:11]
	v_fma_f64 v[66:67], s[8:9], v[52:53], v[64:65]
	v_add_f64 v[60:61], v[60:61], -v[130:131]
	v_add_f64 v[66:67], v[66:67], v[70:71]
	v_mul_f64 v[70:71], v[54:55], s[8:9]
	v_fma_f64 v[130:131], s[30:31], v[60:61], v[70:71]
	v_fma_f64 v[64:65], v[52:53], s[8:9], -v[64:65]
	v_fmac_f64_e32 v[70:71], s[10:11], v[60:61]
	v_add_f64 v[64:65], v[64:65], v[68:69]
	v_add_f64 v[68:69], v[70:71], v[84:85]
	v_mul_f64 v[70:71], v[62:63], s[20:21]
	v_fma_f64 v[84:85], s[18:19], v[52:53], v[70:71]
	v_add_f64 v[84:85], v[84:85], v[98:99]
	v_mul_f64 v[98:99], v[54:55], s[18:19]
	v_add_f64 v[86:87], v[130:131], v[86:87]
	v_fma_f64 v[130:131], s[36:37], v[60:61], v[98:99]
	v_fma_f64 v[70:71], v[52:53], s[18:19], -v[70:71]
	v_fmac_f64_e32 v[98:99], s[20:21], v[60:61]
	v_add_f64 v[70:71], v[70:71], v[96:97]
	v_add_f64 v[96:97], v[98:99], v[112:113]
	v_mul_f64 v[98:99], v[62:63], s[34:35]
	v_fma_f64 v[112:113], s[22:23], v[52:53], v[98:99]
	v_add_f64 v[112:113], v[112:113], v[118:119]
	v_mul_f64 v[118:119], v[54:55], s[22:23]
	v_add_f64 v[114:115], v[130:131], v[114:115]
	v_fma_f64 v[130:131], s[26:27], v[60:61], v[118:119]
	v_fma_f64 v[98:99], v[52:53], s[22:23], -v[98:99]
	v_fmac_f64_e32 v[118:119], s[34:35], v[60:61]
	v_add_f64 v[98:99], v[98:99], v[116:117]
	v_add_f64 v[116:117], v[118:119], v[138:139]
	v_mul_f64 v[118:119], v[62:63], s[28:29]
	v_fma_f64 v[136:137], s[14:15], v[52:53], v[118:119]
	v_fma_f64 v[118:119], v[52:53], s[14:15], -v[118:119]
	v_mul_f64 v[62:63], v[62:63], s[24:25]
	v_mul_f64 v[138:139], v[54:55], s[14:15]
	v_add_f64 v[118:119], v[118:119], v[142:143]
	v_fma_f64 v[142:143], s[0:1], v[52:53], v[62:63]
	v_mul_f64 v[54:55], v[54:55], s[0:1]
	v_fma_f64 v[52:53], v[52:53], s[0:1], -v[62:63]
	v_add_f64 v[62:63], v[182:183], -v[128:129]
	v_add_f64 v[130:131], v[130:131], v[140:141]
	v_add_f64 v[136:137], v[136:137], v[184:185]
	v_fma_f64 v[140:141], s[16:17], v[60:61], v[138:139]
	v_fmac_f64_e32 v[138:139], s[28:29], v[60:61]
	v_fma_f64 v[184:185], s[2:3], v[60:61], v[54:55]
	v_add_f64 v[24:25], v[52:53], v[24:25]
	v_fmac_f64_e32 v[54:55], s[24:25], v[60:61]
	v_add_f64 v[52:53], v[134:135], v[126:127]
	v_add_f64 v[60:61], v[134:135], -v[126:127]
	v_mul_f64 v[126:127], v[62:63], s[16:17]
	v_add_f64 v[26:27], v[54:55], v[26:27]
	v_add_f64 v[54:55], v[182:183], v[128:129]
	v_fma_f64 v[128:129], s[14:15], v[52:53], v[126:127]
	v_add_f64 v[66:67], v[128:129], v[66:67]
	v_mul_f64 v[128:129], v[54:55], s[14:15]
	v_fma_f64 v[126:127], v[52:53], s[14:15], -v[126:127]
	v_fma_f64 v[134:135], s[28:29], v[60:61], v[128:129]
	v_add_f64 v[64:65], v[126:127], v[64:65]
	v_fmac_f64_e32 v[128:129], s[16:17], v[60:61]
	v_mul_f64 v[126:127], v[62:63], s[34:35]
	v_add_f64 v[68:69], v[128:129], v[68:69]
	v_fma_f64 v[128:129], s[22:23], v[52:53], v[126:127]
	v_add_f64 v[84:85], v[128:129], v[84:85]
	v_mul_f64 v[128:129], v[54:55], s[22:23]
	v_fma_f64 v[126:127], v[52:53], s[22:23], -v[126:127]
	v_add_f64 v[86:87], v[134:135], v[86:87]
	v_fma_f64 v[134:135], s[26:27], v[60:61], v[128:129]
	v_add_f64 v[70:71], v[126:127], v[70:71]
	v_fmac_f64_e32 v[128:129], s[34:35], v[60:61]
	v_mul_f64 v[126:127], v[62:63], s[30:31]
	v_add_f64 v[96:97], v[128:129], v[96:97]
	v_fma_f64 v[128:129], s[8:9], v[52:53], v[126:127]
	v_add_f64 v[112:113], v[128:129], v[112:113]
	v_mul_f64 v[128:129], v[54:55], s[8:9]
	v_fma_f64 v[126:127], v[52:53], s[8:9], -v[126:127]
	v_add_f64 v[114:115], v[134:135], v[114:115]
	v_fma_f64 v[134:135], s[10:11], v[60:61], v[128:129]
	v_add_f64 v[98:99], v[126:127], v[98:99]
	v_fmac_f64_e32 v[128:129], s[30:31], v[60:61]
	v_mul_f64 v[126:127], v[62:63], s[2:3]
	v_add_f64 v[130:131], v[134:135], v[130:131]
	v_add_f64 v[116:117], v[128:129], v[116:117]
	v_fma_f64 v[128:129], s[0:1], v[52:53], v[126:127]
	v_mul_f64 v[134:135], v[54:55], s[0:1]
	v_add_f64 v[138:139], v[138:139], v[186:187]
	v_add_f64 v[128:129], v[128:129], v[136:137]
	v_fma_f64 v[136:137], s[24:25], v[60:61], v[134:135]
	v_fma_f64 v[126:127], v[52:53], s[0:1], -v[126:127]
	v_fmac_f64_e32 v[134:135], s[2:3], v[60:61]
	v_mul_f64 v[62:63], v[62:63], s[20:21]
	v_add_f64 v[118:119], v[126:127], v[118:119]
	v_add_f64 v[126:127], v[134:135], v[138:139]
	v_fma_f64 v[134:135], s[18:19], v[52:53], v[62:63]
	v_mul_f64 v[54:55], v[54:55], s[18:19]
	v_fma_f64 v[52:53], v[52:53], s[18:19], -v[62:63]
	v_add_f64 v[62:63], v[122:123], -v[124:125]
	v_fma_f64 v[138:139], s[36:37], v[60:61], v[54:55]
	v_add_f64 v[24:25], v[52:53], v[24:25]
	v_fmac_f64_e32 v[54:55], s[20:21], v[60:61]
	v_add_f64 v[52:53], v[120:121], v[132:133]
	v_add_f64 v[60:61], v[120:121], -v[132:133]
	v_mul_f64 v[120:121], v[62:63], s[20:21]
	v_add_f64 v[26:27], v[54:55], v[26:27]
	v_add_f64 v[54:55], v[122:123], v[124:125]
	v_fma_f64 v[122:123], s[18:19], v[52:53], v[120:121]
	v_add_f64 v[66:67], v[122:123], v[66:67]
	v_mul_f64 v[122:123], v[54:55], s[18:19]
	v_fma_f64 v[120:121], v[52:53], s[18:19], -v[120:121]
	v_fma_f64 v[124:125], s[36:37], v[60:61], v[122:123]
	v_add_f64 v[64:65], v[120:121], v[64:65]
	v_fmac_f64_e32 v[122:123], s[20:21], v[60:61]
	v_mul_f64 v[120:121], v[62:63], s[28:29]
	v_add_f64 v[68:69], v[122:123], v[68:69]
	v_fma_f64 v[122:123], s[14:15], v[52:53], v[120:121]
	v_add_f64 v[84:85], v[122:123], v[84:85]
	v_mul_f64 v[122:123], v[54:55], s[14:15]
	v_fma_f64 v[120:121], v[52:53], s[14:15], -v[120:121]
	v_add_f64 v[86:87], v[124:125], v[86:87]
	v_fma_f64 v[124:125], s[16:17], v[60:61], v[122:123]
	v_add_f64 v[70:71], v[120:121], v[70:71]
	v_fmac_f64_e32 v[122:123], s[28:29], v[60:61]
	v_mul_f64 v[120:121], v[62:63], s[2:3]
	v_add_f64 v[96:97], v[122:123], v[96:97]
	v_fma_f64 v[122:123], s[0:1], v[52:53], v[120:121]
	v_add_f64 v[112:113], v[122:123], v[112:113]
	v_mul_f64 v[122:123], v[54:55], s[0:1]
	v_add_f64 v[114:115], v[124:125], v[114:115]
	v_fma_f64 v[124:125], s[24:25], v[60:61], v[122:123]
	v_fmac_f64_e32 v[122:123], s[2:3], v[60:61]
	v_add_f64 v[124:125], v[124:125], v[130:131]
	v_fma_f64 v[120:121], v[52:53], s[0:1], -v[120:121]
	v_add_f64 v[130:131], v[122:123], v[116:117]
	v_mul_f64 v[116:117], v[62:63], s[26:27]
	v_add_f64 v[98:99], v[120:121], v[98:99]
	v_fma_f64 v[120:121], s[22:23], v[52:53], v[116:117]
	v_add_f64 v[140:141], v[140:141], v[188:189]
	v_add_f64 v[128:129], v[120:121], v[128:129]
	v_mul_f64 v[120:121], v[54:55], s[22:23]
	v_add_f64 v[142:143], v[142:143], v[190:191]
	v_add_f64 v[136:137], v[136:137], v[140:141]
	v_fma_f64 v[122:123], s[34:35], v[60:61], v[120:121]
	v_fma_f64 v[116:117], v[52:53], s[22:23], -v[116:117]
	v_mul_f64 v[62:63], v[62:63], s[30:31]
	v_add_f64 v[134:135], v[134:135], v[142:143]
	v_add_f64 v[132:133], v[122:123], v[136:137]
	;; [unrolled: 1-line block ×3, first 2 shown]
	v_fma_f64 v[116:117], s[8:9], v[52:53], v[62:63]
	v_mul_f64 v[54:55], v[54:55], s[8:9]
	v_fma_f64 v[52:53], v[52:53], s[8:9], -v[62:63]
	v_add_f64 v[142:143], v[46:47], -v[50:51]
	v_fmac_f64_e32 v[120:121], s[26:27], v[60:61]
	v_add_f64 v[134:135], v[116:117], v[134:135]
	v_fma_f64 v[116:117], s[10:11], v[60:61], v[54:55]
	v_add_f64 v[52:53], v[52:53], v[24:25]
	v_fmac_f64_e32 v[54:55], s[30:31], v[60:61]
	v_add_f64 v[60:61], v[44:45], v[48:49]
	v_mul_f64 v[24:25], v[142:143], s[26:27]
	v_add_f64 v[54:55], v[54:55], v[26:27]
	v_add_f64 v[62:63], v[46:47], v[50:51]
	v_fma_f64 v[26:27], s[22:23], v[60:61], v[24:25]
	v_add_f64 v[140:141], v[44:45], -v[48:49]
	v_add_f64 v[48:49], v[26:27], v[66:67]
	v_mul_f64 v[26:27], v[62:63], s[22:23]
	v_fma_f64 v[44:45], s[34:35], v[140:141], v[26:27]
	v_add_f64 v[184:185], v[184:185], v[192:193]
	v_add_f64 v[50:51], v[44:45], v[86:87]
	v_mul_f64 v[44:45], v[142:143], s[24:25]
	v_add_f64 v[138:139], v[138:139], v[184:185]
	v_fma_f64 v[46:47], s[0:1], v[60:61], v[44:45]
	v_add_f64 v[138:139], v[116:117], v[138:139]
	v_fma_f64 v[24:25], v[60:61], s[22:23], -v[24:25]
	v_add_f64 v[116:117], v[46:47], v[84:85]
	v_mul_f64 v[46:47], v[62:63], s[0:1]
	v_add_f64 v[24:25], v[24:25], v[64:65]
	v_fma_f64 v[64:65], s[2:3], v[140:141], v[46:47]
	v_add_f64 v[118:119], v[64:65], v[114:115]
	v_mul_f64 v[64:65], v[142:143], s[20:21]
	v_fma_f64 v[66:67], s[18:19], v[60:61], v[64:65]
	v_add_f64 v[126:127], v[120:121], v[126:127]
	v_fmac_f64_e32 v[26:27], s[26:27], v[140:141]
	v_add_f64 v[120:121], v[66:67], v[112:113]
	v_mul_f64 v[66:67], v[62:63], s[18:19]
	v_fma_f64 v[64:65], v[60:61], s[18:19], -v[64:65]
	v_add_f64 v[26:27], v[26:27], v[68:69]
	v_fma_f64 v[68:69], s[36:37], v[140:141], v[66:67]
	v_add_f64 v[112:113], v[64:65], v[98:99]
	v_fmac_f64_e32 v[66:67], s[20:21], v[140:141]
	v_mul_f64 v[64:65], v[142:143], s[30:31]
	v_add_f64 v[114:115], v[66:67], v[130:131]
	v_fma_f64 v[66:67], s[8:9], v[60:61], v[64:65]
	v_add_f64 v[128:129], v[66:67], v[128:129]
	v_mul_f64 v[66:67], v[62:63], s[8:9]
	v_fma_f64 v[64:65], v[60:61], s[8:9], -v[64:65]
	v_add_f64 v[122:123], v[68:69], v[124:125]
	v_fma_f64 v[68:69], s[10:11], v[140:141], v[66:67]
	v_add_f64 v[124:125], v[64:65], v[136:137]
	v_fmac_f64_e32 v[66:67], s[30:31], v[140:141]
	v_mul_f64 v[64:65], v[142:143], s[16:17]
	v_add_f64 v[126:127], v[66:67], v[126:127]
	v_fma_f64 v[66:67], s[14:15], v[60:61], v[64:65]
	v_mul_f64 v[62:63], v[62:63], s[14:15]
	v_add_f64 v[130:131], v[68:69], v[132:133]
	v_add_f64 v[132:133], v[66:67], v[134:135]
	v_fma_f64 v[66:67], s[28:29], v[140:141], v[62:63]
	v_fmac_f64_e32 v[62:63], s[16:17], v[140:141]
	v_fma_f64 v[44:45], v[60:61], s[0:1], -v[44:45]
	v_add_f64 v[134:135], v[66:67], v[138:139]
	v_fma_f64 v[60:61], v[60:61], s[14:15], -v[64:65]
	v_add_f64 v[138:139], v[62:63], v[54:55]
	v_add_f64 v[54:55], v[22:23], v[174:175]
	;; [unrolled: 1-line block ×19, first 2 shown]
	v_fmac_f64_e32 v[46:47], s[24:25], v[140:141]
	v_add_f64 v[52:53], v[52:53], v[168:169]
	v_add_f64 v[142:143], v[54:55], v[178:179]
	;; [unrolled: 1-line block ×6, first 2 shown]
	v_add_f64 v[60:61], v[172:173], -v[176:177]
	v_add_f64 v[62:63], v[174:175], -v[178:179]
	v_mul_f64 v[68:69], v[54:55], s[0:1]
	v_mul_f64 v[96:97], v[54:55], s[8:9]
	;; [unrolled: 1-line block ×5, first 2 shown]
	v_add_f64 v[44:45], v[44:45], v[70:71]
	v_mul_f64 v[64:65], v[62:63], s[2:3]
	v_fma_f64 v[70:71], s[24:25], v[60:61], v[68:69]
	v_fmac_f64_e32 v[68:69], s[2:3], v[60:61]
	v_mul_f64 v[84:85], v[62:63], s[10:11]
	v_fma_f64 v[98:99], s[30:31], v[60:61], v[96:97]
	v_fmac_f64_e32 v[96:97], s[10:11], v[60:61]
	;; [unrolled: 3-line block ×5, first 2 shown]
	v_fma_f64 v[66:67], s[0:1], v[52:53], v[64:65]
	v_add_f64 v[70:71], v[22:23], v[70:71]
	v_fma_f64 v[64:65], v[52:53], s[0:1], -v[64:65]
	v_add_f64 v[68:69], v[22:23], v[68:69]
	v_fma_f64 v[86:87], s[8:9], v[52:53], v[84:85]
	v_add_f64 v[98:99], v[22:23], v[98:99]
	v_fma_f64 v[84:85], v[52:53], s[8:9], -v[84:85]
	v_add_f64 v[96:97], v[22:23], v[96:97]
	;; [unrolled: 4-line block ×5, first 2 shown]
	v_add_f64 v[54:55], v[58:59], v[170:171]
	v_add_f64 v[58:59], v[58:59], -v[170:171]
	v_add_f64 v[66:67], v[20:21], v[66:67]
	v_add_f64 v[64:65], v[20:21], v[64:65]
	;; [unrolled: 1-line block ×11, first 2 shown]
	v_mul_f64 v[60:61], v[58:59], s[10:11]
	v_fma_f64 v[62:63], s[8:9], v[52:53], v[60:61]
	v_add_f64 v[56:57], v[56:57], -v[168:169]
	v_add_f64 v[62:63], v[62:63], v[66:67]
	v_mul_f64 v[66:67], v[54:55], s[8:9]
	v_fma_f64 v[168:169], s[30:31], v[56:57], v[66:67]
	v_fma_f64 v[60:61], v[52:53], s[8:9], -v[60:61]
	v_fmac_f64_e32 v[66:67], s[10:11], v[56:57]
	v_add_f64 v[60:61], v[60:61], v[64:65]
	v_add_f64 v[64:65], v[66:67], v[68:69]
	v_mul_f64 v[66:67], v[58:59], s[20:21]
	v_fma_f64 v[68:69], s[18:19], v[52:53], v[66:67]
	v_add_f64 v[68:69], v[68:69], v[86:87]
	v_mul_f64 v[86:87], v[54:55], s[18:19]
	v_add_f64 v[70:71], v[168:169], v[70:71]
	v_fma_f64 v[168:169], s[36:37], v[56:57], v[86:87]
	v_fma_f64 v[66:67], v[52:53], s[18:19], -v[66:67]
	v_fmac_f64_e32 v[86:87], s[20:21], v[56:57]
	v_add_f64 v[66:67], v[66:67], v[84:85]
	v_add_f64 v[84:85], v[86:87], v[96:97]
	v_mul_f64 v[86:87], v[58:59], s[34:35]
	v_fma_f64 v[96:97], s[22:23], v[52:53], v[86:87]
	v_fma_f64 v[86:87], v[52:53], s[22:23], -v[86:87]
	v_add_f64 v[98:99], v[168:169], v[98:99]
	v_mul_f64 v[168:169], v[54:55], s[22:23]
	v_add_f64 v[86:87], v[86:87], v[172:173]
	v_mul_f64 v[172:173], v[58:59], s[28:29]
	v_add_f64 v[96:97], v[96:97], v[174:175]
	v_fma_f64 v[170:171], s[26:27], v[56:57], v[168:169]
	v_fmac_f64_e32 v[168:169], s[34:35], v[56:57]
	v_fma_f64 v[174:175], s[14:15], v[52:53], v[172:173]
	v_fma_f64 v[172:173], v[52:53], s[14:15], -v[172:173]
	v_mul_f64 v[58:59], v[58:59], s[24:25]
	v_add_f64 v[168:169], v[168:169], v[176:177]
	v_mul_f64 v[176:177], v[54:55], s[14:15]
	v_add_f64 v[172:173], v[172:173], v[182:183]
	v_fma_f64 v[182:183], s[0:1], v[52:53], v[58:59]
	v_mul_f64 v[54:55], v[54:55], s[0:1]
	v_fma_f64 v[52:53], v[52:53], s[0:1], -v[58:59]
	v_add_f64 v[58:59], v[162:163], -v[166:167]
	v_add_f64 v[170:171], v[170:171], v[178:179]
	v_add_f64 v[174:175], v[174:175], v[184:185]
	v_fma_f64 v[178:179], s[16:17], v[56:57], v[176:177]
	v_fmac_f64_e32 v[176:177], s[28:29], v[56:57]
	v_fma_f64 v[184:185], s[2:3], v[56:57], v[54:55]
	v_add_f64 v[20:21], v[52:53], v[20:21]
	v_fmac_f64_e32 v[54:55], s[24:25], v[56:57]
	v_add_f64 v[52:53], v[160:161], v[164:165]
	v_add_f64 v[56:57], v[160:161], -v[164:165]
	v_mul_f64 v[160:161], v[58:59], s[16:17]
	v_add_f64 v[22:23], v[54:55], v[22:23]
	v_add_f64 v[54:55], v[162:163], v[166:167]
	v_fma_f64 v[162:163], s[14:15], v[52:53], v[160:161]
	v_add_f64 v[62:63], v[162:163], v[62:63]
	v_mul_f64 v[162:163], v[54:55], s[14:15]
	v_fma_f64 v[160:161], v[52:53], s[14:15], -v[160:161]
	v_fma_f64 v[164:165], s[28:29], v[56:57], v[162:163]
	v_add_f64 v[60:61], v[160:161], v[60:61]
	v_fmac_f64_e32 v[162:163], s[16:17], v[56:57]
	v_mul_f64 v[160:161], v[58:59], s[34:35]
	v_add_f64 v[64:65], v[162:163], v[64:65]
	v_fma_f64 v[162:163], s[22:23], v[52:53], v[160:161]
	v_add_f64 v[68:69], v[162:163], v[68:69]
	v_mul_f64 v[162:163], v[54:55], s[22:23]
	v_fma_f64 v[160:161], v[52:53], s[22:23], -v[160:161]
	v_add_f64 v[70:71], v[164:165], v[70:71]
	v_fma_f64 v[164:165], s[26:27], v[56:57], v[162:163]
	v_add_f64 v[66:67], v[160:161], v[66:67]
	v_fmac_f64_e32 v[162:163], s[34:35], v[56:57]
	v_mul_f64 v[160:161], v[58:59], s[30:31]
	v_add_f64 v[84:85], v[162:163], v[84:85]
	v_fma_f64 v[162:163], s[8:9], v[52:53], v[160:161]
	v_add_f64 v[96:97], v[162:163], v[96:97]
	v_mul_f64 v[162:163], v[54:55], s[8:9]
	v_add_f64 v[98:99], v[164:165], v[98:99]
	v_fma_f64 v[164:165], s[10:11], v[56:57], v[162:163]
	v_fma_f64 v[160:161], v[52:53], s[8:9], -v[160:161]
	v_fmac_f64_e32 v[162:163], s[30:31], v[56:57]
	v_add_f64 v[86:87], v[160:161], v[86:87]
	v_add_f64 v[160:161], v[162:163], v[168:169]
	v_mul_f64 v[162:163], v[58:59], s[2:3]
	v_fma_f64 v[166:167], s[0:1], v[52:53], v[162:163]
	v_fma_f64 v[162:163], v[52:53], s[0:1], -v[162:163]
	v_mul_f64 v[58:59], v[58:59], s[20:21]
	v_mul_f64 v[168:169], v[54:55], s[0:1]
	v_add_f64 v[162:163], v[162:163], v[172:173]
	v_fma_f64 v[172:173], s[18:19], v[52:53], v[58:59]
	v_mul_f64 v[54:55], v[54:55], s[18:19]
	v_fma_f64 v[52:53], v[52:53], s[18:19], -v[58:59]
	v_add_f64 v[58:59], v[154:155], -v[158:159]
	v_add_f64 v[164:165], v[164:165], v[170:171]
	v_add_f64 v[166:167], v[166:167], v[174:175]
	v_fma_f64 v[170:171], s[24:25], v[56:57], v[168:169]
	v_fmac_f64_e32 v[168:169], s[2:3], v[56:57]
	v_fma_f64 v[174:175], s[36:37], v[56:57], v[54:55]
	v_add_f64 v[20:21], v[52:53], v[20:21]
	v_fmac_f64_e32 v[54:55], s[20:21], v[56:57]
	v_add_f64 v[52:53], v[152:153], v[156:157]
	v_add_f64 v[56:57], v[152:153], -v[156:157]
	v_mul_f64 v[152:153], v[58:59], s[20:21]
	v_add_f64 v[22:23], v[54:55], v[22:23]
	v_add_f64 v[54:55], v[154:155], v[158:159]
	v_fma_f64 v[154:155], s[18:19], v[52:53], v[152:153]
	v_add_f64 v[62:63], v[154:155], v[62:63]
	v_mul_f64 v[154:155], v[54:55], s[18:19]
	v_fma_f64 v[152:153], v[52:53], s[18:19], -v[152:153]
	v_fma_f64 v[156:157], s[36:37], v[56:57], v[154:155]
	v_add_f64 v[60:61], v[152:153], v[60:61]
	v_fmac_f64_e32 v[154:155], s[20:21], v[56:57]
	v_mul_f64 v[152:153], v[58:59], s[28:29]
	v_add_f64 v[64:65], v[154:155], v[64:65]
	v_fma_f64 v[154:155], s[14:15], v[52:53], v[152:153]
	v_add_f64 v[68:69], v[154:155], v[68:69]
	v_mul_f64 v[154:155], v[54:55], s[14:15]
	v_fma_f64 v[152:153], v[52:53], s[14:15], -v[152:153]
	v_add_f64 v[70:71], v[156:157], v[70:71]
	v_fma_f64 v[156:157], s[16:17], v[56:57], v[154:155]
	v_add_f64 v[66:67], v[152:153], v[66:67]
	v_fmac_f64_e32 v[154:155], s[28:29], v[56:57]
	v_mul_f64 v[152:153], v[58:59], s[2:3]
	v_add_f64 v[84:85], v[154:155], v[84:85]
	v_fma_f64 v[154:155], s[0:1], v[52:53], v[152:153]
	v_add_f64 v[96:97], v[154:155], v[96:97]
	v_mul_f64 v[154:155], v[54:55], s[0:1]
	v_add_f64 v[98:99], v[156:157], v[98:99]
	v_fma_f64 v[156:157], s[24:25], v[56:57], v[154:155]
	v_fma_f64 v[152:153], v[52:53], s[0:1], -v[152:153]
	v_fmac_f64_e32 v[154:155], s[2:3], v[56:57]
	v_add_f64 v[86:87], v[152:153], v[86:87]
	v_add_f64 v[152:153], v[154:155], v[160:161]
	v_mul_f64 v[154:155], v[58:59], s[26:27]
	v_add_f64 v[182:183], v[182:183], v[190:191]
	v_fma_f64 v[158:159], s[22:23], v[52:53], v[154:155]
	v_fma_f64 v[154:155], v[52:53], s[22:23], -v[154:155]
	v_mul_f64 v[58:59], v[58:59], s[30:31]
	v_add_f64 v[176:177], v[176:177], v[186:187]
	v_add_f64 v[172:173], v[172:173], v[182:183]
	v_mul_f64 v[160:161], v[54:55], s[22:23]
	v_add_f64 v[154:155], v[154:155], v[162:163]
	v_fma_f64 v[162:163], s[8:9], v[52:53], v[58:59]
	v_add_f64 v[168:169], v[168:169], v[176:177]
	v_add_f64 v[156:157], v[156:157], v[164:165]
	v_fma_f64 v[164:165], s[34:35], v[56:57], v[160:161]
	v_fmac_f64_e32 v[160:161], s[26:27], v[56:57]
	v_add_f64 v[162:163], v[162:163], v[172:173]
	v_fma_f64 v[52:53], v[52:53], s[8:9], -v[58:59]
	v_add_f64 v[172:173], v[144:145], v[148:149]
	v_add_f64 v[176:177], v[144:145], -v[148:149]
	v_add_f64 v[144:145], v[146:147], -v[150:151]
	v_add_f64 v[184:185], v[184:185], v[192:193]
	v_add_f64 v[160:161], v[160:161], v[168:169]
	v_mul_f64 v[54:55], v[54:55], s[8:9]
	v_add_f64 v[168:169], v[52:53], v[20:21]
	v_mul_f64 v[52:53], v[144:145], s[26:27]
	v_add_f64 v[178:179], v[178:179], v[188:189]
	v_add_f64 v[174:175], v[174:175], v[184:185]
	;; [unrolled: 1-line block ×3, first 2 shown]
	v_fma_f64 v[166:167], s[10:11], v[56:57], v[54:55]
	v_fma_f64 v[20:21], s[22:23], v[172:173], v[52:53]
	v_fma_f64 v[52:53], v[172:173], s[22:23], -v[52:53]
	v_add_f64 v[170:171], v[170:171], v[178:179]
	v_add_f64 v[166:167], v[166:167], v[174:175]
	v_fmac_f64_e32 v[54:55], s[30:31], v[56:57]
	v_add_f64 v[174:175], v[146:147], v[150:151]
	v_add_f64 v[52:53], v[52:53], v[60:61]
	v_mul_f64 v[60:61], v[144:145], s[24:25]
	v_add_f64 v[164:165], v[164:165], v[170:171]
	v_add_f64 v[170:171], v[54:55], v[22:23]
	v_mul_f64 v[54:55], v[174:175], s[22:23]
	v_fma_f64 v[56:57], s[0:1], v[172:173], v[60:61]
	v_add_f64 v[20:21], v[20:21], v[62:63]
	v_fma_f64 v[22:23], s[34:35], v[176:177], v[54:55]
	v_fmac_f64_e32 v[54:55], s[26:27], v[176:177]
	v_add_f64 v[56:57], v[56:57], v[68:69]
	v_mul_f64 v[62:63], v[174:175], s[0:1]
	v_mul_f64 v[68:69], v[144:145], s[20:21]
	v_add_f64 v[54:55], v[54:55], v[64:65]
	v_fma_f64 v[58:59], s[2:3], v[176:177], v[62:63]
	v_fma_f64 v[64:65], s[18:19], v[172:173], v[68:69]
	v_add_f64 v[28:29], v[28:29], v[196:197]
	v_add_f64 v[22:23], v[22:23], v[70:71]
	v_add_f64 v[58:59], v[58:59], v[98:99]
	v_fma_f64 v[60:61], v[172:173], s[0:1], -v[60:61]
	v_fmac_f64_e32 v[62:63], s[24:25], v[176:177]
	v_add_f64 v[64:65], v[64:65], v[96:97]
	v_mul_f64 v[70:71], v[174:175], s[18:19]
	v_fma_f64 v[68:69], v[172:173], s[18:19], -v[68:69]
	v_mul_f64 v[96:97], v[144:145], s[30:31]
	v_mul_f64 v[98:99], v[174:175], s[8:9]
	;; [unrolled: 1-line block ×4, first 2 shown]
	v_add_f64 v[28:29], v[28:29], v[206:207]
	v_add_f64 v[60:61], v[60:61], v[66:67]
	;; [unrolled: 1-line block ×3, first 2 shown]
	v_fma_f64 v[66:67], s[36:37], v[176:177], v[70:71]
	v_add_f64 v[68:69], v[68:69], v[86:87]
	v_fmac_f64_e32 v[70:71], s[20:21], v[176:177]
	v_fma_f64 v[84:85], s[8:9], v[172:173], v[96:97]
	v_fma_f64 v[86:87], s[10:11], v[176:177], v[98:99]
	v_fma_f64 v[96:97], v[172:173], s[8:9], -v[96:97]
	v_fmac_f64_e32 v[98:99], s[30:31], v[176:177]
	v_fma_f64 v[144:145], s[14:15], v[172:173], v[148:149]
	v_fma_f64 v[146:147], s[28:29], v[176:177], v[150:151]
	v_fma_f64 v[148:149], v[172:173], s[14:15], -v[148:149]
	v_fmac_f64_e32 v[150:151], s[16:17], v[176:177]
	v_add_f64 v[66:67], v[66:67], v[156:157]
	v_add_f64 v[70:71], v[70:71], v[152:153]
	;; [unrolled: 1-line block ×10, first 2 shown]
	ds_write_b128 v181, v[28:31]
	ds_write_b128 v181, v[40:43] offset:112
	ds_write_b128 v181, v[76:79] offset:224
	ds_write_b128 v181, v[80:83] offset:336
	ds_write_b128 v181, v[92:95] offset:448
	ds_write_b128 v181, v[100:103] offset:560
	ds_write_b128 v181, v[104:107] offset:672
	ds_write_b128 v181, v[88:91] offset:784
	ds_write_b128 v181, v[72:75] offset:896
	ds_write_b128 v181, v[36:39] offset:1008
	ds_write_b128 v181, v[32:35] offset:1120
	ds_write_b128 v216, v[108:111]
	ds_write_b128 v216, v[48:51] offset:112
	ds_write_b128 v216, v[116:119] offset:224
	ds_write_b128 v216, v[120:123] offset:336
	ds_write_b128 v216, v[128:131] offset:448
	ds_write_b128 v216, v[132:135] offset:560
	ds_write_b128 v216, v[136:139] offset:672
	ds_write_b128 v216, v[124:127] offset:784
	ds_write_b128 v216, v[112:115] offset:896
	ds_write_b128 v216, v[44:47] offset:1008
	ds_write_b128 v216, v[24:27] offset:1120
	;; [unrolled: 11-line block ×3, first 2 shown]
	s_and_saveexec_b64 s[36:37], vcc
	s_cbranch_execz .LBB0_9
; %bb.8:
	scratch_load_dwordx4 v[28:31], off, off offset:992 ; 16-byte Folded Reload
	scratch_load_dwordx4 v[24:27], off, off offset:1008 ; 16-byte Folded Reload
	v_accvgpr_read_b32 v36, a100
	v_accvgpr_read_b32 v37, a101
	;; [unrolled: 1-line block ×36, first 2 shown]
	scratch_load_dwordx4 v[64:67], off, off offset:944 ; 16-byte Folded Reload
	s_waitcnt vmcnt(2)
	v_mul_f64 v[32:33], v[30:31], v[38:39]
	v_mul_f64 v[22:23], v[30:31], v[36:37]
	v_fmac_f64_e32 v[32:33], v[28:29], v[36:37]
	s_waitcnt vmcnt(1)
	v_mul_f64 v[34:35], v[26:27], v[44:45]
	v_fma_f64 v[40:41], v[28:29], v[38:39], -v[22:23]
	v_mul_f64 v[22:23], v[26:27], v[42:43]
	scratch_load_dwordx4 v[28:31], off, off offset:928 ; 16-byte Folded Reload
	v_fmac_f64_e32 v[34:35], v[24:25], v[42:43]
	v_fma_f64 v[42:43], v[24:25], v[44:45], -v[22:23]
	scratch_load_dwordx4 v[44:47], off, off offset:960 ; 16-byte Folded Reload
	v_add_f64 v[78:79], v[32:33], -v[34:35]
	v_mul_f64 v[20:21], v[78:79], s[16:17]
	v_add_f64 v[62:63], v[40:41], v[42:43]
	v_fma_f64 v[22:23], s[14:15], v[62:63], v[20:21]
	v_add_f64 v[102:103], v[40:41], -v[42:43]
	v_fma_f64 v[20:21], v[62:63], s[14:15], -v[20:21]
	s_waitcnt vmcnt(1)
	v_mul_f64 v[26:27], v[30:31], v[48:49]
	v_mul_f64 v[36:37], v[30:31], v[50:51]
	v_fma_f64 v[50:51], v[28:29], v[50:51], -v[26:27]
	s_waitcnt vmcnt(0)
	v_mul_f64 v[38:39], v[46:47], v[54:55]
	v_mul_f64 v[26:27], v[46:47], v[52:53]
	v_fmac_f64_e32 v[36:37], v[28:29], v[48:49]
	v_fmac_f64_e32 v[38:39], v[44:45], v[52:53]
	v_fma_f64 v[48:49], v[44:45], v[54:55], -v[26:27]
	scratch_load_dwordx4 v[52:55], off, off offset:912 ; 16-byte Folded Reload
	v_add_f64 v[82:83], v[36:37], -v[38:39]
	v_mul_f64 v[24:25], v[82:83], s[30:31]
	v_add_f64 v[70:71], v[50:51], v[48:49]
	v_fma_f64 v[26:27], s[8:9], v[70:71], v[24:25]
	v_add_f64 v[104:105], v[50:51], -v[48:49]
	v_mul_f64 v[44:45], v[66:67], v[74:75]
	v_fmac_f64_e32 v[44:45], v[64:65], v[72:73]
	s_waitcnt vmcnt(0)
	v_mul_f64 v[30:31], v[54:55], v[56:57]
	v_mul_f64 v[46:47], v[54:55], v[58:59]
	v_fma_f64 v[58:59], v[52:53], v[58:59], -v[30:31]
	v_mul_f64 v[30:31], v[66:67], v[72:73]
	v_fmac_f64_e32 v[46:47], v[52:53], v[56:57]
	v_fma_f64 v[56:57], v[64:65], v[74:75], -v[30:31]
	scratch_load_dwordx4 v[64:67], off, off offset:896 ; 16-byte Folded Reload
	scratch_load_dwordx4 v[72:75], off, off offset:1024 ; 16-byte Folded Reload
	v_add_f64 v[84:85], v[46:47], -v[44:45]
	v_mul_f64 v[28:29], v[84:85], s[20:21]
	v_add_f64 v[76:77], v[58:59], v[56:57]
	v_fma_f64 v[30:31], s[18:19], v[76:77], v[28:29]
	v_add_f64 v[106:107], v[58:59], -v[56:57]
	v_mul_f64 v[112:113], v[106:107], s[20:21]
	s_waitcnt vmcnt(1)
	v_mul_f64 v[60:61], v[66:67], v[86:87]
	s_waitcnt vmcnt(0)
	v_mul_f64 v[52:53], v[74:75], v[92:93]
	v_fma_f64 v[68:69], v[64:65], v[88:89], -v[60:61]
	v_mul_f64 v[60:61], v[74:75], v[90:91]
	v_mul_f64 v[54:55], v[66:67], v[88:89]
	v_fmac_f64_e32 v[52:53], v[72:73], v[90:91]
	v_fma_f64 v[66:67], v[72:73], v[92:93], -v[60:61]
	scratch_load_dwordx4 v[72:75], off, off offset:880 ; 16-byte Folded Reload
	scratch_load_dwordx4 v[90:93], off, off offset:976 ; 16-byte Folded Reload
	v_fmac_f64_e32 v[54:55], v[64:65], v[86:87]
	v_add_f64 v[98:99], v[54:55], -v[52:53]
	v_mul_f64 v[108:109], v[98:99], s[24:25]
	v_add_f64 v[80:81], v[68:69], v[66:67]
	v_fma_f64 v[88:89], s[0:1], v[80:81], v[108:109]
	v_add_f64 v[124:125], v[68:69], -v[66:67]
	v_mul_f64 v[116:117], v[124:125], s[24:25]
	v_mul_f64 v[128:129], v[124:125], s[28:29]
	;; [unrolled: 1-line block ×5, first 2 shown]
	s_waitcnt vmcnt(1)
	v_mul_f64 v[64:65], v[74:75], v[18:19]
	v_fmac_f64_e32 v[64:65], v[72:73], v[16:17]
	s_waitcnt vmcnt(0)
	v_mul_f64 v[60:61], v[92:93], v[96:97]
	v_mul_f64 v[16:17], v[74:75], v[16:17]
	v_fmac_f64_e32 v[60:61], v[90:91], v[94:95]
	v_fma_f64 v[74:75], v[72:73], v[18:19], -v[16:17]
	v_mul_f64 v[16:17], v[92:93], v[94:95]
	v_add_f64 v[100:101], v[64:65], -v[60:61]
	v_fma_f64 v[72:73], v[90:91], v[96:97], -v[16:17]
	v_mul_f64 v[110:111], v[100:101], s[26:27]
	v_add_f64 v[86:87], v[74:75], v[72:73]
	v_fma_f64 v[16:17], s[22:23], v[86:87], v[110:111]
	v_add_f64 v[126:127], v[74:75], -v[72:73]
	v_add_f64 v[16:17], v[14:15], v[16:17]
	v_add_f64 v[96:97], v[64:65], v[60:61]
	v_mul_f64 v[120:121], v[126:127], s[26:27]
	v_add_f64 v[16:17], v[88:89], v[16:17]
	v_add_f64 v[94:95], v[54:55], v[52:53]
	v_fma_f64 v[122:123], v[96:97], s[22:23], -v[120:121]
	v_add_f64 v[16:17], v[30:31], v[16:17]
	v_add_f64 v[92:93], v[46:47], v[44:45]
	v_fma_f64 v[118:119], v[94:95], s[0:1], -v[116:117]
	v_add_f64 v[122:123], v[12:13], v[122:123]
	v_add_f64 v[16:17], v[26:27], v[16:17]
	v_add_f64 v[90:91], v[36:37], v[38:39]
	v_mul_f64 v[30:31], v[104:105], s[30:31]
	v_fma_f64 v[114:115], v[92:93], s[18:19], -v[112:113]
	v_add_f64 v[118:119], v[118:119], v[122:123]
	v_add_f64 v[18:19], v[22:23], v[16:17]
	;; [unrolled: 1-line block ×3, first 2 shown]
	v_mul_f64 v[26:27], v[102:103], s[16:17]
	v_fma_f64 v[22:23], v[90:91], s[8:9], -v[30:31]
	v_add_f64 v[114:115], v[114:115], v[118:119]
	v_fma_f64 v[16:17], v[88:89], s[14:15], -v[26:27]
	v_add_f64 v[22:23], v[22:23], v[114:115]
	v_add_f64 v[16:17], v[16:17], v[22:23]
	v_fma_f64 v[22:23], v[70:71], s[8:9], -v[24:25]
	v_fma_f64 v[24:25], v[76:77], s[18:19], -v[28:29]
	;; [unrolled: 1-line block ×4, first 2 shown]
	v_add_f64 v[108:109], v[14:15], v[108:109]
	v_add_f64 v[28:29], v[28:29], v[108:109]
	;; [unrolled: 1-line block ×4, first 2 shown]
	v_fmac_f64_e32 v[120:121], s[22:23], v[96:97]
	v_add_f64 v[22:23], v[20:21], v[22:23]
	v_fmac_f64_e32 v[116:117], s[0:1], v[94:95]
	v_add_f64 v[20:21], v[12:13], v[120:121]
	;; [unrolled: 2-line block ×3, first 2 shown]
	v_mul_f64 v[116:117], v[100:101], s[20:21]
	v_add_f64 v[20:21], v[112:113], v[20:21]
	v_mul_f64 v[112:113], v[98:99], s[28:29]
	v_fma_f64 v[118:119], s[18:19], v[86:87], v[116:117]
	v_fma_f64 v[116:117], v[86:87], s[18:19], -v[116:117]
	v_fmac_f64_e32 v[30:31], s[8:9], v[90:91]
	v_mul_f64 v[108:109], v[84:85], s[2:3]
	v_fma_f64 v[114:115], s[14:15], v[80:81], v[112:113]
	v_fma_f64 v[112:113], v[80:81], s[14:15], -v[112:113]
	v_add_f64 v[116:117], v[14:15], v[116:117]
	v_fmac_f64_e32 v[26:27], s[14:15], v[88:89]
	v_add_f64 v[20:21], v[30:31], v[20:21]
	v_mul_f64 v[30:31], v[82:83], s[26:27]
	v_fma_f64 v[110:111], s[0:1], v[76:77], v[108:109]
	v_fma_f64 v[108:109], v[76:77], s[0:1], -v[108:109]
	v_add_f64 v[112:113], v[112:113], v[116:117]
	v_add_f64 v[20:21], v[26:27], v[20:21]
	v_mul_f64 v[28:29], v[78:79], s[30:31]
	v_fma_f64 v[26:27], s[22:23], v[70:71], v[30:31]
	v_mul_f64 v[132:133], v[126:127], s[20:21]
	v_fma_f64 v[30:31], v[70:71], s[22:23], -v[30:31]
	v_add_f64 v[108:109], v[108:109], v[112:113]
	v_fma_f64 v[24:25], s[8:9], v[62:63], v[28:29]
	v_add_f64 v[118:119], v[14:15], v[118:119]
	v_fma_f64 v[134:135], v[96:97], s[18:19], -v[132:133]
	v_fma_f64 v[28:29], v[62:63], s[8:9], -v[28:29]
	v_add_f64 v[30:31], v[30:31], v[108:109]
	v_fmac_f64_e32 v[132:133], s[18:19], v[96:97]
	v_add_f64 v[114:115], v[114:115], v[118:119]
	v_mul_f64 v[120:121], v[106:107], s[2:3]
	v_fma_f64 v[130:131], v[94:95], s[14:15], -v[128:129]
	v_add_f64 v[134:135], v[12:13], v[134:135]
	v_add_f64 v[30:31], v[28:29], v[30:31]
	v_fmac_f64_e32 v[128:129], s[14:15], v[94:95]
	v_add_f64 v[28:29], v[12:13], v[132:133]
	v_add_f64 v[110:111], v[110:111], v[114:115]
	v_mul_f64 v[114:115], v[104:105], s[26:27]
	v_fma_f64 v[122:123], v[92:93], s[0:1], -v[120:121]
	v_add_f64 v[130:131], v[130:131], v[134:135]
	v_fmac_f64_e32 v[120:121], s[0:1], v[92:93]
	v_add_f64 v[28:29], v[128:129], v[28:29]
	v_mul_f64 v[128:129], v[100:101], s[16:17]
	v_add_f64 v[26:27], v[26:27], v[110:111]
	v_mul_f64 v[110:111], v[102:103], s[30:31]
	v_fma_f64 v[118:119], v[90:91], s[22:23], -v[114:115]
	v_add_f64 v[122:123], v[122:123], v[130:131]
	v_add_f64 v[28:29], v[120:121], v[28:29]
	v_mul_f64 v[120:121], v[98:99], s[34:35]
	v_fma_f64 v[130:131], s[14:15], v[86:87], v[128:129]
	v_fma_f64 v[128:129], v[86:87], s[14:15], -v[128:129]
	v_add_f64 v[26:27], v[24:25], v[26:27]
	v_fma_f64 v[24:25], v[88:89], s[8:9], -v[110:111]
	v_add_f64 v[118:119], v[118:119], v[122:123]
	v_fmac_f64_e32 v[114:115], s[22:23], v[90:91]
	v_mul_f64 v[116:117], v[84:85], s[30:31]
	v_fma_f64 v[122:123], s[22:23], v[80:81], v[120:121]
	v_fma_f64 v[120:121], v[80:81], s[22:23], -v[120:121]
	v_add_f64 v[128:129], v[14:15], v[128:129]
	v_add_f64 v[24:25], v[24:25], v[118:119]
	v_fmac_f64_e32 v[110:111], s[8:9], v[88:89]
	v_add_f64 v[28:29], v[114:115], v[28:29]
	v_mul_f64 v[114:115], v[82:83], s[2:3]
	v_fma_f64 v[118:119], s[8:9], v[76:77], v[116:117]
	v_fma_f64 v[116:117], v[76:77], s[8:9], -v[116:117]
	v_add_f64 v[120:121], v[120:121], v[128:129]
	v_add_f64 v[28:29], v[110:111], v[28:29]
	v_mul_f64 v[112:113], v[78:79], s[20:21]
	v_fma_f64 v[110:111], s[0:1], v[70:71], v[114:115]
	v_mul_f64 v[140:141], v[126:127], s[16:17]
	v_fma_f64 v[114:115], v[70:71], s[0:1], -v[114:115]
	v_add_f64 v[116:117], v[116:117], v[120:121]
	v_fma_f64 v[108:109], s[18:19], v[62:63], v[112:113]
	v_add_f64 v[130:131], v[14:15], v[130:131]
	v_fma_f64 v[142:143], v[96:97], s[14:15], -v[140:141]
	v_fma_f64 v[112:113], v[62:63], s[18:19], -v[112:113]
	v_add_f64 v[114:115], v[114:115], v[116:117]
	v_fmac_f64_e32 v[140:141], s[14:15], v[96:97]
	v_add_f64 v[122:123], v[122:123], v[130:131]
	v_mul_f64 v[132:133], v[106:107], s[30:31]
	v_fma_f64 v[138:139], v[94:95], s[22:23], -v[136:137]
	v_add_f64 v[142:143], v[12:13], v[142:143]
	v_add_f64 v[114:115], v[112:113], v[114:115]
	v_fmac_f64_e32 v[136:137], s[22:23], v[94:95]
	v_add_f64 v[112:113], v[12:13], v[140:141]
	v_add_f64 v[118:119], v[118:119], v[122:123]
	v_mul_f64 v[122:123], v[104:105], s[2:3]
	v_fma_f64 v[134:135], v[92:93], s[8:9], -v[132:133]
	v_add_f64 v[138:139], v[138:139], v[142:143]
	v_fmac_f64_e32 v[132:133], s[8:9], v[92:93]
	v_add_f64 v[112:113], v[136:137], v[112:113]
	v_mul_f64 v[136:137], v[100:101], s[10:11]
	v_add_f64 v[110:111], v[110:111], v[118:119]
	v_mul_f64 v[118:119], v[102:103], s[20:21]
	v_fma_f64 v[130:131], v[90:91], s[0:1], -v[122:123]
	v_add_f64 v[134:135], v[134:135], v[138:139]
	v_add_f64 v[112:113], v[132:133], v[112:113]
	v_mul_f64 v[132:133], v[98:99], s[20:21]
	v_fma_f64 v[138:139], s[8:9], v[86:87], v[136:137]
	v_fma_f64 v[136:137], v[86:87], s[8:9], -v[136:137]
	v_add_f64 v[110:111], v[108:109], v[110:111]
	v_fma_f64 v[108:109], v[88:89], s[18:19], -v[118:119]
	v_add_f64 v[130:131], v[130:131], v[134:135]
	v_fmac_f64_e32 v[122:123], s[0:1], v[90:91]
	v_mul_f64 v[128:129], v[84:85], s[34:35]
	v_fma_f64 v[134:135], s[18:19], v[80:81], v[132:133]
	v_fma_f64 v[132:133], v[80:81], s[18:19], -v[132:133]
	v_add_f64 v[136:137], v[14:15], v[136:137]
	v_add_f64 v[108:109], v[108:109], v[130:131]
	v_fmac_f64_e32 v[118:119], s[18:19], v[88:89]
	v_add_f64 v[112:113], v[122:123], v[112:113]
	v_mul_f64 v[122:123], v[82:83], s[28:29]
	v_fma_f64 v[130:131], s[22:23], v[76:77], v[128:129]
	v_fma_f64 v[128:129], v[76:77], s[22:23], -v[128:129]
	v_add_f64 v[132:133], v[132:133], v[136:137]
	v_add_f64 v[112:113], v[118:119], v[112:113]
	v_mul_f64 v[120:121], v[78:79], s[24:25]
	v_fma_f64 v[118:119], s[14:15], v[70:71], v[122:123]
	v_mul_f64 v[148:149], v[126:127], s[10:11]
	v_fma_f64 v[122:123], v[70:71], s[14:15], -v[122:123]
	v_add_f64 v[128:129], v[128:129], v[132:133]
	v_fma_f64 v[116:117], s[0:1], v[62:63], v[120:121]
	v_add_f64 v[138:139], v[14:15], v[138:139]
	v_fma_f64 v[150:151], v[96:97], s[8:9], -v[148:149]
	v_fma_f64 v[120:121], v[62:63], s[0:1], -v[120:121]
	v_add_f64 v[122:123], v[122:123], v[128:129]
	v_fmac_f64_e32 v[148:149], s[8:9], v[96:97]
	v_add_f64 v[134:135], v[134:135], v[138:139]
	v_mul_f64 v[140:141], v[106:107], s[34:35]
	v_fma_f64 v[146:147], v[94:95], s[18:19], -v[144:145]
	v_add_f64 v[122:123], v[120:121], v[122:123]
	v_fmac_f64_e32 v[144:145], s[18:19], v[94:95]
	v_add_f64 v[120:121], v[12:13], v[148:149]
	v_add_f64 v[130:131], v[130:131], v[134:135]
	v_mul_f64 v[134:135], v[104:105], s[28:29]
	v_fma_f64 v[142:143], v[92:93], s[22:23], -v[140:141]
	v_fmac_f64_e32 v[140:141], s[22:23], v[92:93]
	v_add_f64 v[120:121], v[144:145], v[120:121]
	v_fma_f64 v[138:139], v[90:91], s[14:15], -v[134:135]
	v_fmac_f64_e32 v[134:135], s[14:15], v[90:91]
	v_add_f64 v[120:121], v[140:141], v[120:121]
	v_mul_f64 v[78:79], v[78:79], s[26:27]
	v_mul_f64 v[98:99], v[98:99], s[10:11]
	;; [unrolled: 1-line block ×3, first 2 shown]
	v_add_f64 v[118:119], v[118:119], v[130:131]
	v_mul_f64 v[130:131], v[102:103], s[24:25]
	v_add_f64 v[150:151], v[12:13], v[150:151]
	v_add_f64 v[120:121], v[134:135], v[120:121]
	v_fma_f64 v[128:129], s[22:23], v[62:63], v[78:79]
	v_fma_f64 v[134:135], s[8:9], v[80:81], v[98:99]
	v_fma_f64 v[62:63], v[62:63], s[22:23], -v[78:79]
	v_fma_f64 v[78:79], v[80:81], s[8:9], -v[98:99]
	;; [unrolled: 1-line block ×3, first 2 shown]
	v_add_f64 v[118:119], v[116:117], v[118:119]
	v_fma_f64 v[116:117], v[88:89], s[0:1], -v[130:131]
	v_add_f64 v[146:147], v[146:147], v[150:151]
	v_fmac_f64_e32 v[130:131], s[0:1], v[88:89]
	v_mul_f64 v[132:133], v[84:85], s[16:17]
	v_add_f64 v[80:81], v[14:15], v[80:81]
	v_add_f64 v[142:143], v[142:143], v[146:147]
	;; [unrolled: 1-line block ×3, first 2 shown]
	v_mul_f64 v[130:131], v[82:83], s[20:21]
	v_fma_f64 v[84:85], s[14:15], v[76:77], v[132:133]
	v_fma_f64 v[76:77], v[76:77], s[14:15], -v[132:133]
	v_add_f64 v[78:79], v[78:79], v[80:81]
	v_add_f64 v[138:139], v[138:139], v[142:143]
	v_fma_f64 v[82:83], s[18:19], v[70:71], v[130:131]
	v_mul_f64 v[126:127], v[126:127], s[2:3]
	v_fma_f64 v[70:71], v[70:71], s[18:19], -v[130:131]
	v_add_f64 v[76:77], v[76:77], v[78:79]
	v_add_f64 v[116:117], v[116:117], v[138:139]
	v_fma_f64 v[138:139], v[96:97], s[0:1], -v[126:127]
	v_add_f64 v[70:71], v[70:71], v[76:77]
	v_fmac_f64_e32 v[126:127], s[0:1], v[96:97]
	v_add_f64 v[138:139], v[12:13], v[138:139]
	v_add_f64 v[78:79], v[62:63], v[70:71]
	;; [unrolled: 1-line block ×8, first 2 shown]
	scratch_load_dword v32, off, off offset:232 ; 4-byte Folded Reload
	scratch_load_dword v33, off, off offset:476 ; 4-byte Folded Reload
	v_fma_f64 v[136:137], s[0:1], v[86:87], v[100:101]
	v_add_f64 v[136:137], v[14:15], v[136:137]
	v_add_f64 v[14:15], v[14:15], v[74:75]
	;; [unrolled: 1-line block ×10, first 2 shown]
	v_mul_f64 v[106:107], v[106:107], s[16:17]
	v_fma_f64 v[136:137], v[94:95], s[8:9], -v[124:125]
	v_fmac_f64_e32 v[124:125], s[8:9], v[94:95]
	v_add_f64 v[14:15], v[14:15], v[48:49]
	v_add_f64 v[12:13], v[12:13], v[38:39]
	v_add_f64 v[82:83], v[82:83], v[84:85]
	v_mul_f64 v[104:105], v[104:105], s[20:21]
	v_fma_f64 v[134:135], v[92:93], s[14:15], -v[106:107]
	v_add_f64 v[136:137], v[136:137], v[138:139]
	v_fmac_f64_e32 v[106:107], s[14:15], v[92:93]
	v_add_f64 v[62:63], v[124:125], v[62:63]
	v_add_f64 v[14:15], v[14:15], v[56:57]
	;; [unrolled: 1-line block ×4, first 2 shown]
	v_mul_f64 v[102:103], v[102:103], s[26:27]
	v_fma_f64 v[128:129], v[90:91], s[18:19], -v[104:105]
	v_add_f64 v[134:135], v[134:135], v[136:137]
	v_fmac_f64_e32 v[104:105], s[18:19], v[90:91]
	v_add_f64 v[62:63], v[106:107], v[62:63]
	v_add_f64 v[14:15], v[14:15], v[66:67]
	v_add_f64 v[12:13], v[12:13], v[52:53]
	v_fma_f64 v[82:83], v[88:89], s[22:23], -v[102:103]
	v_add_f64 v[128:129], v[128:129], v[134:135]
	v_fmac_f64_e32 v[102:103], s[22:23], v[88:89]
	v_add_f64 v[62:63], v[104:105], v[62:63]
	v_add_f64 v[14:15], v[14:15], v[72:73]
	;; [unrolled: 1-line block ×5, first 2 shown]
	s_waitcnt vmcnt(1)
	v_mul_u32_u24_e32 v32, 0x4d, v32
	s_waitcnt vmcnt(0)
	v_add_lshl_u32 v32, v32, v33, 4
	ds_write_b128 v32, v[12:15]
	ds_write_b128 v32, v[76:79] offset:112
	ds_write_b128 v32, v[120:123] offset:224
	;; [unrolled: 1-line block ×10, first 2 shown]
.LBB0_9:
	s_or_b64 exec, exec, s[36:37]
	s_waitcnt lgkmcnt(0)
	; wave barrier
	s_waitcnt lgkmcnt(0)
	ds_read_b128 v[16:19], v180 offset:6160
	ds_read_b128 v[12:15], v180 offset:5280
	v_accvgpr_read_b32 v20, a96
	v_accvgpr_read_b32 v22, a98
	v_accvgpr_read_b32 v23, a99
	v_accvgpr_read_b32 v21, a97
	s_waitcnt lgkmcnt(1)
	v_mul_f64 v[170:171], v[22:23], v[18:19]
	v_fmac_f64_e32 v[170:171], v[20:21], v[16:17]
	v_mul_f64 v[16:17], v[22:23], v[16:17]
	v_fma_f64 v[168:169], v[20:21], v[18:19], -v[16:17]
	ds_read_b128 v[16:19], v180 offset:12320
	ds_read_b128 v[20:23], v180 offset:13200
	v_accvgpr_read_b32 v24, a92
	v_accvgpr_read_b32 v26, a94
	v_accvgpr_read_b32 v27, a95
	v_accvgpr_read_b32 v25, a93
	s_waitcnt lgkmcnt(1)
	v_mul_f64 v[174:175], v[26:27], v[18:19]
	v_fmac_f64_e32 v[174:175], v[24:25], v[16:17]
	v_mul_f64 v[16:17], v[26:27], v[16:17]
	v_fma_f64 v[172:173], v[24:25], v[18:19], -v[16:17]
	;; [unrolled: 11-line block ×5, first 2 shown]
	v_accvgpr_read_b32 v36, a116
	v_accvgpr_read_b32 v38, a118
	;; [unrolled: 1-line block ×4, first 2 shown]
	v_mul_f64 v[158:159], v[38:39], v[22:23]
	v_mul_f64 v[16:17], v[38:39], v[20:21]
	v_fmac_f64_e32 v[158:159], v[36:37], v[20:21]
	v_fma_f64 v[156:157], v[36:37], v[22:23], -v[16:17]
	ds_read_b128 v[16:19], v180 offset:19360
	ds_read_b128 v[20:23], v180 offset:20240
	v_accvgpr_read_b32 v36, a124
	v_accvgpr_read_b32 v38, a126
	;; [unrolled: 1-line block ×4, first 2 shown]
	s_waitcnt lgkmcnt(1)
	v_mul_f64 v[162:163], v[38:39], v[18:19]
	v_fmac_f64_e32 v[162:163], v[36:37], v[16:17]
	v_mul_f64 v[16:17], v[38:39], v[16:17]
	v_fma_f64 v[160:161], v[36:37], v[18:19], -v[16:17]
	v_accvgpr_read_b32 v36, a120
	v_accvgpr_read_b32 v38, a122
	;; [unrolled: 1-line block ×4, first 2 shown]
	v_mul_f64 v[166:167], v[38:39], v[30:31]
	v_mul_f64 v[16:17], v[38:39], v[28:29]
	v_fmac_f64_e32 v[166:167], v[36:37], v[28:29]
	v_fma_f64 v[164:165], v[36:37], v[30:31], -v[16:17]
	v_accvgpr_read_b32 v28, a64
	v_accvgpr_read_b32 v30, a66
	;; [unrolled: 1-line block ×4, first 2 shown]
	v_mul_f64 v[138:139], v[30:31], v[34:35]
	v_mul_f64 v[16:17], v[30:31], v[32:33]
	v_fmac_f64_e32 v[138:139], v[28:29], v[32:33]
	v_fma_f64 v[136:137], v[28:29], v[34:35], -v[16:17]
	ds_read_b128 v[16:19], v180 offset:14080
	ds_read_b128 v[28:31], v180 offset:14960
	v_accvgpr_read_b32 v32, a128
	v_accvgpr_read_b32 v34, a130
	;; [unrolled: 1-line block ×4, first 2 shown]
	s_waitcnt lgkmcnt(1)
	v_mul_f64 v[142:143], v[34:35], v[18:19]
	v_fmac_f64_e32 v[142:143], v[32:33], v[16:17]
	v_mul_f64 v[16:17], v[34:35], v[16:17]
	v_fma_f64 v[140:141], v[32:33], v[18:19], -v[16:17]
	v_accvgpr_read_b32 v32, a190
	v_accvgpr_read_b32 v34, a192
	;; [unrolled: 1-line block ×4, first 2 shown]
	v_mul_f64 v[146:147], v[34:35], v[22:23]
	v_mul_f64 v[16:17], v[34:35], v[20:21]
	v_fmac_f64_e32 v[146:147], v[32:33], v[20:21]
	v_fma_f64 v[144:145], v[32:33], v[22:23], -v[16:17]
	ds_read_b128 v[16:19], v180 offset:26400
	ds_read_b128 v[20:23], v180 offset:27280
	v_accvgpr_read_b32 v32, a186
	v_accvgpr_read_b32 v34, a188
	;; [unrolled: 1-line block ×4, first 2 shown]
	s_waitcnt lgkmcnt(1)
	v_mul_f64 v[150:151], v[34:35], v[18:19]
	v_fmac_f64_e32 v[150:151], v[32:33], v[16:17]
	v_mul_f64 v[16:17], v[34:35], v[16:17]
	v_fma_f64 v[148:149], v[32:33], v[18:19], -v[16:17]
	ds_read_b128 v[16:19], v180 offset:8800
	ds_read_b128 v[32:35], v180 offset:9680
	v_accvgpr_read_b32 v36, a182
	v_accvgpr_read_b32 v38, a184
	;; [unrolled: 1-line block ×4, first 2 shown]
	s_waitcnt lgkmcnt(1)
	v_mul_f64 v[122:123], v[38:39], v[18:19]
	v_fmac_f64_e32 v[122:123], v[36:37], v[16:17]
	v_mul_f64 v[16:17], v[38:39], v[16:17]
	v_fma_f64 v[120:121], v[36:37], v[18:19], -v[16:17]
	v_accvgpr_read_b32 v36, a170
	v_accvgpr_read_b32 v38, a172
	;; [unrolled: 1-line block ×4, first 2 shown]
	v_mul_f64 v[126:127], v[38:39], v[30:31]
	v_mul_f64 v[16:17], v[38:39], v[28:29]
	v_fmac_f64_e32 v[126:127], v[36:37], v[28:29]
	v_fma_f64 v[124:125], v[36:37], v[30:31], -v[16:17]
	ds_read_b128 v[16:19], v180 offset:21120
	ds_read_b128 v[28:31], v180 offset:22000
	v_accvgpr_read_b32 v36, a178
	v_accvgpr_read_b32 v38, a180
	;; [unrolled: 1-line block ×4, first 2 shown]
	s_waitcnt lgkmcnt(1)
	v_mul_f64 v[130:131], v[38:39], v[18:19]
	v_fmac_f64_e32 v[130:131], v[36:37], v[16:17]
	v_mul_f64 v[16:17], v[38:39], v[16:17]
	v_fma_f64 v[128:129], v[36:37], v[18:19], -v[16:17]
	v_accvgpr_read_b32 v36, a166
	v_accvgpr_read_b32 v38, a168
	;; [unrolled: 1-line block ×4, first 2 shown]
	v_mul_f64 v[134:135], v[38:39], v[22:23]
	v_fmac_f64_e32 v[134:135], v[36:37], v[20:21]
	v_mul_f64 v[16:17], v[38:39], v[20:21]
	v_accvgpr_read_b32 v18, a174
	v_accvgpr_read_b32 v20, a176
	;; [unrolled: 1-line block ×3, first 2 shown]
	v_fma_f64 v[132:133], v[36:37], v[22:23], -v[16:17]
	v_accvgpr_read_b32 v19, a175
	v_mul_f64 v[106:107], v[20:21], v[34:35]
	v_mul_f64 v[16:17], v[20:21], v[32:33]
	v_fmac_f64_e32 v[106:107], v[18:19], v[32:33]
	v_fma_f64 v[104:105], v[18:19], v[34:35], -v[16:17]
	ds_read_b128 v[16:19], v180 offset:15840
	ds_read_b128 v[20:23], v180 offset:16720
	v_accvgpr_read_b32 v32, a162
	v_accvgpr_read_b32 v34, a164
	;; [unrolled: 1-line block ×4, first 2 shown]
	s_waitcnt lgkmcnt(1)
	v_mul_f64 v[110:111], v[34:35], v[18:19]
	v_fmac_f64_e32 v[110:111], v[32:33], v[16:17]
	v_mul_f64 v[16:17], v[34:35], v[16:17]
	v_fma_f64 v[108:109], v[32:33], v[18:19], -v[16:17]
	v_accvgpr_read_b32 v32, a158
	v_accvgpr_read_b32 v34, a160
	;; [unrolled: 1-line block ×4, first 2 shown]
	v_mul_f64 v[114:115], v[34:35], v[30:31]
	v_mul_f64 v[16:17], v[34:35], v[28:29]
	v_fmac_f64_e32 v[114:115], v[32:33], v[28:29]
	v_fma_f64 v[112:113], v[32:33], v[30:31], -v[16:17]
	ds_read_b128 v[16:19], v180 offset:28160
	ds_read_b128 v[28:31], v180 offset:29040
	v_accvgpr_read_b32 v32, a154
	v_accvgpr_read_b32 v34, a156
	;; [unrolled: 1-line block ×4, first 2 shown]
	s_waitcnt lgkmcnt(1)
	v_mul_f64 v[118:119], v[34:35], v[18:19]
	v_fmac_f64_e32 v[118:119], v[32:33], v[16:17]
	v_mul_f64 v[16:17], v[34:35], v[16:17]
	v_fma_f64 v[116:117], v[32:33], v[18:19], -v[16:17]
	ds_read_b128 v[16:19], v180 offset:10560
	ds_read_b128 v[32:35], v180 offset:11440
	v_accvgpr_read_b32 v36, a144
	v_accvgpr_read_b32 v38, a146
	;; [unrolled: 1-line block ×4, first 2 shown]
	s_waitcnt lgkmcnt(1)
	v_mul_f64 v[82:83], v[38:39], v[18:19]
	v_fmac_f64_e32 v[82:83], v[36:37], v[16:17]
	v_mul_f64 v[16:17], v[38:39], v[16:17]
	v_fma_f64 v[80:81], v[36:37], v[18:19], -v[16:17]
	v_accvgpr_read_b32 v36, a150
	v_accvgpr_read_b32 v38, a152
	v_accvgpr_read_b32 v39, a153
	v_accvgpr_read_b32 v37, a151
	v_mul_f64 v[90:91], v[38:39], v[22:23]
	v_mul_f64 v[16:17], v[38:39], v[20:21]
	v_fmac_f64_e32 v[90:91], v[36:37], v[20:21]
	v_fma_f64 v[88:89], v[36:37], v[22:23], -v[16:17]
	ds_read_b128 v[16:19], v180 offset:22880
	ds_read_b128 v[20:23], v180 offset:23760
	v_accvgpr_read_b32 v36, a140
	v_accvgpr_read_b32 v38, a142
	v_accvgpr_read_b32 v39, a143
	v_accvgpr_read_b32 v37, a141
	s_waitcnt lgkmcnt(1)
	v_mul_f64 v[94:95], v[38:39], v[18:19]
	v_fmac_f64_e32 v[94:95], v[36:37], v[16:17]
	v_mul_f64 v[16:17], v[38:39], v[16:17]
	v_fma_f64 v[92:93], v[36:37], v[18:19], -v[16:17]
	v_accvgpr_read_b32 v36, a132
	v_accvgpr_read_b32 v38, a134
	v_accvgpr_read_b32 v39, a135
	v_accvgpr_read_b32 v37, a133
	v_mul_f64 v[102:103], v[38:39], v[30:31]
	v_mul_f64 v[16:17], v[38:39], v[28:29]
	v_fmac_f64_e32 v[102:103], v[36:37], v[28:29]
	v_fma_f64 v[100:101], v[36:37], v[30:31], -v[16:17]
	v_accvgpr_read_b32 v28, a136
	v_accvgpr_read_b32 v30, a138
	v_accvgpr_read_b32 v31, a139
	v_accvgpr_read_b32 v29, a137
	v_mul_f64 v[46:47], v[30:31], v[34:35]
	v_mul_f64 v[16:17], v[30:31], v[32:33]
	v_fmac_f64_e32 v[46:47], v[28:29], v[32:33]
	;; [unrolled: 8-line block ×3, first 2 shown]
	v_fma_f64 v[48:49], v[28:29], v[26:27], -v[16:17]
	v_accvgpr_read_b32 v24, a210
	v_accvgpr_read_b32 v26, a212
	;; [unrolled: 1-line block ×4, first 2 shown]
	s_waitcnt lgkmcnt(0)
	v_mul_f64 v[16:17], v[26:27], v[20:21]
	v_fma_f64 v[72:73], v[24:25], v[22:23], -v[16:17]
	ds_read_b128 v[16:19], v180 offset:29920
	v_mul_f64 v[74:75], v[26:27], v[22:23]
	v_fmac_f64_e32 v[74:75], v[24:25], v[20:21]
	v_accvgpr_read_b32 v20, a194
	ds_read_b128 v[36:39], v180
	ds_read_b128 v[32:35], v180 offset:880
	v_accvgpr_read_b32 v22, a196
	v_accvgpr_read_b32 v23, a197
	;; [unrolled: 1-line block ×3, first 2 shown]
	s_waitcnt lgkmcnt(2)
	v_mul_f64 v[78:79], v[22:23], v[18:19]
	v_fmac_f64_e32 v[78:79], v[20:21], v[16:17]
	v_mul_f64 v[16:17], v[22:23], v[16:17]
	v_fma_f64 v[76:77], v[20:21], v[18:19], -v[16:17]
	s_waitcnt lgkmcnt(1)
	v_add_f64 v[16:17], v[36:37], v[170:171]
	v_add_f64 v[18:19], v[38:39], v[168:169]
	;; [unrolled: 1-line block ×8, first 2 shown]
	ds_read_b128 v[28:31], v180 offset:1760
	ds_read_b128 v[24:27], v180 offset:2640
	;; [unrolled: 1-line block ×4, first 2 shown]
	s_waitcnt lgkmcnt(0)
	; wave barrier
	s_waitcnt lgkmcnt(0)
	ds_write_b128 v180, v[40:43]
	v_add_f64 v[40:41], v[170:171], -v[174:175]
	v_add_f64 v[42:43], v[56:57], -v[178:179]
	v_add_f64 v[58:59], v[40:41], v[42:43]
	v_add_f64 v[40:41], v[174:175], v[178:179]
	;; [unrolled: 1-line block ×3, first 2 shown]
	s_mov_b32 s8, 0x134454ff
	v_fma_f64 v[40:41], -0.5, v[40:41], v[36:37]
	v_fma_f64 v[42:43], -0.5, v[42:43], v[38:39]
	v_add_f64 v[52:53], v[168:169], -v[172:173]
	v_add_f64 v[54:55], v[182:183], -v[176:177]
	s_mov_b32 s9, 0xbfee6f0e
	s_mov_b32 s0, 0x4755a5e
	v_add_f64 v[62:63], v[168:169], -v[182:183]
	s_mov_b32 s15, 0x3fee6f0e
	s_mov_b32 s14, s8
	v_add_f64 v[66:67], v[170:171], -v[56:57]
	v_add_f64 v[60:61], v[52:53], v[54:55]
	s_mov_b32 s1, 0xbfe2cf23
	v_add_f64 v[64:65], v[172:173], -v[176:177]
	v_fma_f64 v[52:53], s[8:9], v[62:63], v[40:41]
	s_mov_b32 s2, 0x372fe950
	s_mov_b32 s11, 0x3fe2cf23
	;; [unrolled: 1-line block ×3, first 2 shown]
	v_fma_f64 v[54:55], s[14:15], v[66:67], v[42:43]
	v_add_f64 v[68:69], v[174:175], -v[178:179]
	v_fmac_f64_e32 v[52:53], s[0:1], v[64:65]
	s_mov_b32 s3, 0x3fd3c6ef
	v_fmac_f64_e32 v[54:55], s[10:11], v[68:69]
	v_fmac_f64_e32 v[52:53], s[2:3], v[58:59]
	;; [unrolled: 1-line block ×3, first 2 shown]
	ds_write_b128 v180, v[52:55] offset:1232
	v_add_f64 v[52:53], v[170:171], v[56:57]
	v_fmac_f64_e32 v[36:37], -0.5, v[52:53]
	v_add_f64 v[52:53], v[174:175], -v[170:171]
	v_add_f64 v[54:55], v[178:179], -v[56:57]
	v_add_f64 v[56:57], v[52:53], v[54:55]
	v_add_f64 v[52:53], v[168:169], v[182:183]
	v_fmac_f64_e32 v[38:39], -0.5, v[52:53]
	v_add_f64 v[52:53], v[172:173], -v[168:169]
	v_add_f64 v[54:55], v[176:177], -v[182:183]
	v_add_f64 v[70:71], v[52:53], v[54:55]
	v_fma_f64 v[52:53], s[14:15], v[64:65], v[36:37]
	v_fma_f64 v[54:55], s[8:9], v[68:69], v[38:39]
	v_fmac_f64_e32 v[36:37], s[8:9], v[64:65]
	v_fmac_f64_e32 v[38:39], s[14:15], v[68:69]
	;; [unrolled: 1-line block ×6, first 2 shown]
	ds_write_b128 v180, v[36:39] offset:3696
	v_add_f64 v[36:37], v[32:33], v[154:155]
	v_add_f64 v[38:39], v[34:35], v[152:153]
	v_fmac_f64_e32 v[40:41], s[14:15], v[62:63]
	v_fmac_f64_e32 v[42:43], s[8:9], v[66:67]
	v_add_f64 v[36:37], v[36:37], v[158:159]
	v_add_f64 v[38:39], v[38:39], v[156:157]
	v_fmac_f64_e32 v[52:53], s[0:1], v[62:63]
	v_fmac_f64_e32 v[54:55], s[10:11], v[66:67]
	;; [unrolled: 1-line block ×4, first 2 shown]
	v_add_f64 v[36:37], v[36:37], v[162:163]
	v_add_f64 v[38:39], v[38:39], v[160:161]
	v_fmac_f64_e32 v[52:53], s[2:3], v[56:57]
	v_fmac_f64_e32 v[54:55], s[2:3], v[70:71]
	v_fmac_f64_e32 v[40:41], s[2:3], v[58:59]
	v_fmac_f64_e32 v[42:43], s[2:3], v[60:61]
	v_add_f64 v[36:37], v[36:37], v[166:167]
	v_add_f64 v[38:39], v[38:39], v[164:165]
	v_accvgpr_read_b32 v68, a230
	ds_write_b128 v180, v[52:55] offset:2464
	ds_write_b128 v180, v[40:43] offset:4928
	ds_write_b128 v68, v[36:39]
	v_add_f64 v[36:37], v[154:155], -v[158:159]
	v_add_f64 v[38:39], v[166:167], -v[162:163]
	v_add_f64 v[52:53], v[36:37], v[38:39]
	v_add_f64 v[36:37], v[158:159], v[162:163]
	;; [unrolled: 1-line block ×3, first 2 shown]
	v_fma_f64 v[36:37], -0.5, v[36:37], v[32:33]
	v_fma_f64 v[38:39], -0.5, v[38:39], v[34:35]
	v_add_f64 v[40:41], v[152:153], -v[156:157]
	v_add_f64 v[42:43], v[164:165], -v[160:161]
	;; [unrolled: 1-line block ×4, first 2 shown]
	v_add_f64 v[54:55], v[40:41], v[42:43]
	v_add_f64 v[58:59], v[156:157], -v[160:161]
	v_fma_f64 v[40:41], s[8:9], v[56:57], v[36:37]
	v_fma_f64 v[42:43], s[14:15], v[60:61], v[38:39]
	v_add_f64 v[62:63], v[158:159], -v[162:163]
	v_fmac_f64_e32 v[40:41], s[0:1], v[58:59]
	v_fmac_f64_e32 v[42:43], s[10:11], v[62:63]
	;; [unrolled: 1-line block ×4, first 2 shown]
	ds_write_b128 v68, v[40:43] offset:1232
	v_add_f64 v[40:41], v[154:155], v[166:167]
	v_fmac_f64_e32 v[32:33], -0.5, v[40:41]
	v_add_f64 v[40:41], v[158:159], -v[154:155]
	v_add_f64 v[42:43], v[162:163], -v[166:167]
	v_add_f64 v[64:65], v[40:41], v[42:43]
	v_add_f64 v[40:41], v[152:153], v[164:165]
	v_fmac_f64_e32 v[34:35], -0.5, v[40:41]
	v_add_f64 v[40:41], v[156:157], -v[152:153]
	v_add_f64 v[42:43], v[160:161], -v[164:165]
	v_add_f64 v[66:67], v[40:41], v[42:43]
	v_fma_f64 v[40:41], s[14:15], v[58:59], v[32:33]
	v_fma_f64 v[42:43], s[8:9], v[62:63], v[34:35]
	v_fmac_f64_e32 v[32:33], s[8:9], v[58:59]
	v_fmac_f64_e32 v[34:35], s[14:15], v[62:63]
	;; [unrolled: 1-line block ×6, first 2 shown]
	ds_write_b128 v68, v[32:35] offset:3696
	v_add_f64 v[32:33], v[28:29], v[138:139]
	v_add_f64 v[34:35], v[30:31], v[136:137]
	v_fmac_f64_e32 v[36:37], s[14:15], v[56:57]
	v_fmac_f64_e32 v[38:39], s[8:9], v[60:61]
	v_add_f64 v[32:33], v[32:33], v[142:143]
	v_add_f64 v[34:35], v[34:35], v[140:141]
	v_fmac_f64_e32 v[40:41], s[0:1], v[56:57]
	v_fmac_f64_e32 v[42:43], s[10:11], v[60:61]
	;; [unrolled: 1-line block ×4, first 2 shown]
	v_add_f64 v[32:33], v[32:33], v[146:147]
	v_add_f64 v[34:35], v[34:35], v[144:145]
	v_fmac_f64_e32 v[40:41], s[2:3], v[64:65]
	v_fmac_f64_e32 v[42:43], s[2:3], v[66:67]
	;; [unrolled: 1-line block ×4, first 2 shown]
	v_add_f64 v[32:33], v[32:33], v[150:151]
	v_add_f64 v[34:35], v[34:35], v[148:149]
	v_accvgpr_read_b32 v64, a254
	ds_write_b128 v68, v[40:43] offset:2464
	ds_write_b128 v68, v[36:39] offset:4928
	ds_write_b128 v64, v[32:35]
	v_add_f64 v[32:33], v[138:139], -v[142:143]
	v_add_f64 v[34:35], v[150:151], -v[146:147]
	v_add_f64 v[40:41], v[32:33], v[34:35]
	v_add_f64 v[32:33], v[142:143], v[146:147]
	;; [unrolled: 1-line block ×3, first 2 shown]
	v_fma_f64 v[32:33], -0.5, v[32:33], v[28:29]
	v_fma_f64 v[34:35], -0.5, v[34:35], v[30:31]
	v_add_f64 v[36:37], v[136:137], -v[140:141]
	v_add_f64 v[38:39], v[148:149], -v[144:145]
	;; [unrolled: 1-line block ×4, first 2 shown]
	v_add_f64 v[42:43], v[36:37], v[38:39]
	v_add_f64 v[54:55], v[140:141], -v[144:145]
	v_fma_f64 v[36:37], s[8:9], v[52:53], v[32:33]
	v_fma_f64 v[38:39], s[14:15], v[56:57], v[34:35]
	v_add_f64 v[58:59], v[142:143], -v[146:147]
	v_fmac_f64_e32 v[36:37], s[0:1], v[54:55]
	v_fmac_f64_e32 v[38:39], s[10:11], v[58:59]
	v_fmac_f64_e32 v[36:37], s[2:3], v[40:41]
	v_fmac_f64_e32 v[38:39], s[2:3], v[42:43]
	ds_write_b128 v64, v[36:39] offset:1232
	v_add_f64 v[36:37], v[138:139], v[150:151]
	v_fmac_f64_e32 v[28:29], -0.5, v[36:37]
	v_add_f64 v[36:37], v[142:143], -v[138:139]
	v_add_f64 v[38:39], v[146:147], -v[150:151]
	v_add_f64 v[60:61], v[36:37], v[38:39]
	v_add_f64 v[36:37], v[136:137], v[148:149]
	v_fmac_f64_e32 v[30:31], -0.5, v[36:37]
	v_add_f64 v[36:37], v[140:141], -v[136:137]
	v_add_f64 v[38:39], v[144:145], -v[148:149]
	v_add_f64 v[62:63], v[36:37], v[38:39]
	v_fma_f64 v[36:37], s[14:15], v[54:55], v[28:29]
	v_fma_f64 v[38:39], s[8:9], v[58:59], v[30:31]
	v_fmac_f64_e32 v[28:29], s[8:9], v[54:55]
	v_fmac_f64_e32 v[30:31], s[14:15], v[58:59]
	;; [unrolled: 1-line block ×6, first 2 shown]
	ds_write_b128 v64, v[28:31] offset:3696
	v_add_f64 v[28:29], v[24:25], v[122:123]
	v_add_f64 v[30:31], v[26:27], v[120:121]
	v_fmac_f64_e32 v[32:33], s[14:15], v[52:53]
	v_fmac_f64_e32 v[34:35], s[8:9], v[56:57]
	v_add_f64 v[28:29], v[28:29], v[126:127]
	v_add_f64 v[30:31], v[30:31], v[124:125]
	v_fmac_f64_e32 v[36:37], s[0:1], v[52:53]
	v_fmac_f64_e32 v[38:39], s[10:11], v[56:57]
	;; [unrolled: 1-line block ×4, first 2 shown]
	v_add_f64 v[28:29], v[28:29], v[130:131]
	v_add_f64 v[30:31], v[30:31], v[128:129]
	v_fmac_f64_e32 v[36:37], s[2:3], v[60:61]
	v_fmac_f64_e32 v[38:39], s[2:3], v[62:63]
	;; [unrolled: 1-line block ×4, first 2 shown]
	v_add_f64 v[28:29], v[28:29], v[134:135]
	v_add_f64 v[30:31], v[30:31], v[132:133]
	v_accvgpr_read_b32 v60, a231
	ds_write_b128 v64, v[36:39] offset:2464
	ds_write_b128 v64, v[32:35] offset:4928
	;; [unrolled: 1-line block ×3, first 2 shown]
	v_add_f64 v[28:29], v[122:123], -v[126:127]
	v_add_f64 v[30:31], v[134:135], -v[130:131]
	v_add_f64 v[36:37], v[28:29], v[30:31]
	v_add_f64 v[28:29], v[126:127], v[130:131]
	;; [unrolled: 1-line block ×3, first 2 shown]
	v_fma_f64 v[28:29], -0.5, v[28:29], v[24:25]
	v_fma_f64 v[30:31], -0.5, v[30:31], v[26:27]
	v_add_f64 v[32:33], v[120:121], -v[124:125]
	v_add_f64 v[34:35], v[132:133], -v[128:129]
	;; [unrolled: 1-line block ×4, first 2 shown]
	v_add_f64 v[38:39], v[32:33], v[34:35]
	v_add_f64 v[42:43], v[124:125], -v[128:129]
	v_fma_f64 v[32:33], s[8:9], v[40:41], v[28:29]
	v_fma_f64 v[34:35], s[14:15], v[52:53], v[30:31]
	v_add_f64 v[54:55], v[126:127], -v[130:131]
	v_fmac_f64_e32 v[32:33], s[0:1], v[42:43]
	v_fmac_f64_e32 v[34:35], s[10:11], v[54:55]
	;; [unrolled: 1-line block ×4, first 2 shown]
	ds_write_b128 v60, v[32:35] offset:13552
	v_add_f64 v[32:33], v[122:123], v[134:135]
	v_fmac_f64_e32 v[24:25], -0.5, v[32:33]
	v_add_f64 v[32:33], v[126:127], -v[122:123]
	v_add_f64 v[34:35], v[130:131], -v[134:135]
	v_add_f64 v[56:57], v[32:33], v[34:35]
	v_add_f64 v[32:33], v[120:121], v[132:133]
	v_fmac_f64_e32 v[26:27], -0.5, v[32:33]
	v_add_f64 v[32:33], v[124:125], -v[120:121]
	v_add_f64 v[34:35], v[128:129], -v[132:133]
	v_add_f64 v[58:59], v[32:33], v[34:35]
	v_fma_f64 v[32:33], s[14:15], v[42:43], v[24:25]
	v_fma_f64 v[34:35], s[8:9], v[54:55], v[26:27]
	v_fmac_f64_e32 v[24:25], s[8:9], v[42:43]
	v_fmac_f64_e32 v[26:27], s[14:15], v[54:55]
	;; [unrolled: 1-line block ×6, first 2 shown]
	ds_write_b128 v60, v[24:27] offset:16016
	v_add_f64 v[24:25], v[20:21], v[106:107]
	v_add_f64 v[26:27], v[22:23], v[104:105]
	v_fmac_f64_e32 v[28:29], s[14:15], v[40:41]
	v_fmac_f64_e32 v[30:31], s[8:9], v[52:53]
	v_add_f64 v[24:25], v[24:25], v[110:111]
	v_add_f64 v[26:27], v[26:27], v[108:109]
	v_fmac_f64_e32 v[32:33], s[0:1], v[40:41]
	v_fmac_f64_e32 v[34:35], s[10:11], v[52:53]
	;; [unrolled: 1-line block ×4, first 2 shown]
	v_add_f64 v[24:25], v[24:25], v[114:115]
	v_add_f64 v[26:27], v[26:27], v[112:113]
	v_fmac_f64_e32 v[32:33], s[2:3], v[56:57]
	v_fmac_f64_e32 v[34:35], s[2:3], v[58:59]
	;; [unrolled: 1-line block ×4, first 2 shown]
	v_add_f64 v[24:25], v[24:25], v[118:119]
	v_add_f64 v[26:27], v[26:27], v[116:117]
	v_accvgpr_read_b32 v56, a148
	ds_write_b128 v60, v[32:35] offset:14784
	ds_write_b128 v60, v[28:31] offset:17248
	ds_write_b128 v56, v[24:27]
	v_add_f64 v[24:25], v[106:107], -v[110:111]
	v_add_f64 v[26:27], v[118:119], -v[114:115]
	v_add_f64 v[32:33], v[24:25], v[26:27]
	v_add_f64 v[24:25], v[110:111], v[114:115]
	;; [unrolled: 1-line block ×3, first 2 shown]
	v_fma_f64 v[24:25], -0.5, v[24:25], v[20:21]
	v_fma_f64 v[26:27], -0.5, v[26:27], v[22:23]
	v_add_f64 v[28:29], v[104:105], -v[108:109]
	v_add_f64 v[30:31], v[116:117], -v[112:113]
	;; [unrolled: 1-line block ×4, first 2 shown]
	v_add_f64 v[34:35], v[28:29], v[30:31]
	v_add_f64 v[38:39], v[108:109], -v[112:113]
	v_fma_f64 v[28:29], s[8:9], v[36:37], v[24:25]
	v_fma_f64 v[30:31], s[14:15], v[40:41], v[26:27]
	v_add_f64 v[42:43], v[110:111], -v[114:115]
	v_fmac_f64_e32 v[28:29], s[0:1], v[38:39]
	v_fmac_f64_e32 v[30:31], s[10:11], v[42:43]
	v_fmac_f64_e32 v[28:29], s[2:3], v[32:33]
	v_fmac_f64_e32 v[30:31], s[2:3], v[34:35]
	ds_write_b128 v56, v[28:31] offset:1232
	v_add_f64 v[28:29], v[106:107], v[118:119]
	v_fmac_f64_e32 v[20:21], -0.5, v[28:29]
	v_add_f64 v[28:29], v[110:111], -v[106:107]
	v_add_f64 v[30:31], v[114:115], -v[118:119]
	v_add_f64 v[52:53], v[28:29], v[30:31]
	v_add_f64 v[28:29], v[104:105], v[116:117]
	v_fmac_f64_e32 v[22:23], -0.5, v[28:29]
	v_add_f64 v[28:29], v[108:109], -v[104:105]
	v_add_f64 v[30:31], v[112:113], -v[116:117]
	v_add_f64 v[54:55], v[28:29], v[30:31]
	v_fma_f64 v[28:29], s[14:15], v[38:39], v[20:21]
	v_fma_f64 v[30:31], s[8:9], v[42:43], v[22:23]
	v_fmac_f64_e32 v[20:21], s[8:9], v[38:39]
	v_fmac_f64_e32 v[22:23], s[14:15], v[42:43]
	v_fmac_f64_e32 v[20:21], s[10:11], v[36:37]
	v_fmac_f64_e32 v[22:23], s[0:1], v[40:41]
	v_fmac_f64_e32 v[20:21], s[2:3], v[52:53]
	v_fmac_f64_e32 v[22:23], s[2:3], v[54:55]
	ds_write_b128 v56, v[20:23] offset:3696
	v_add_f64 v[20:21], v[16:17], v[82:83]
	v_add_f64 v[22:23], v[18:19], v[80:81]
	v_fmac_f64_e32 v[24:25], s[14:15], v[36:37]
	v_fmac_f64_e32 v[26:27], s[8:9], v[40:41]
	v_add_f64 v[20:21], v[20:21], v[90:91]
	v_add_f64 v[22:23], v[22:23], v[88:89]
	v_fmac_f64_e32 v[28:29], s[0:1], v[36:37]
	v_fmac_f64_e32 v[30:31], s[10:11], v[40:41]
	;; [unrolled: 1-line block ×4, first 2 shown]
	v_add_f64 v[20:21], v[20:21], v[94:95]
	v_add_f64 v[22:23], v[22:23], v[92:93]
	v_fmac_f64_e32 v[28:29], s[2:3], v[52:53]
	v_fmac_f64_e32 v[30:31], s[2:3], v[54:55]
	;; [unrolled: 1-line block ×4, first 2 shown]
	v_add_f64 v[20:21], v[20:21], v[102:103]
	v_add_f64 v[22:23], v[22:23], v[100:101]
	v_accvgpr_read_b32 v52, a249
	ds_write_b128 v56, v[28:31] offset:2464
	ds_write_b128 v56, v[24:27] offset:4928
	ds_write_b128 v52, v[20:23]
	v_add_f64 v[20:21], v[82:83], -v[90:91]
	v_add_f64 v[22:23], v[102:103], -v[94:95]
	v_add_f64 v[28:29], v[20:21], v[22:23]
	v_add_f64 v[20:21], v[90:91], v[94:95]
	;; [unrolled: 1-line block ×3, first 2 shown]
	v_fma_f64 v[20:21], -0.5, v[20:21], v[16:17]
	v_fma_f64 v[22:23], -0.5, v[22:23], v[18:19]
	v_add_f64 v[24:25], v[80:81], -v[88:89]
	v_add_f64 v[26:27], v[100:101], -v[92:93]
	v_add_f64 v[32:33], v[80:81], -v[100:101]
	v_add_f64 v[36:37], v[82:83], -v[102:103]
	v_add_f64 v[30:31], v[24:25], v[26:27]
	v_add_f64 v[34:35], v[88:89], -v[92:93]
	v_fma_f64 v[24:25], s[8:9], v[32:33], v[20:21]
	v_fma_f64 v[26:27], s[14:15], v[36:37], v[22:23]
	v_add_f64 v[38:39], v[90:91], -v[94:95]
	v_fmac_f64_e32 v[24:25], s[0:1], v[34:35]
	v_fmac_f64_e32 v[26:27], s[10:11], v[38:39]
	;; [unrolled: 1-line block ×4, first 2 shown]
	ds_write_b128 v52, v[24:27] offset:1232
	v_add_f64 v[24:25], v[82:83], v[102:103]
	v_fmac_f64_e32 v[16:17], -0.5, v[24:25]
	v_add_f64 v[24:25], v[90:91], -v[82:83]
	v_add_f64 v[26:27], v[94:95], -v[102:103]
	v_add_f64 v[40:41], v[24:25], v[26:27]
	v_add_f64 v[24:25], v[80:81], v[100:101]
	v_fmac_f64_e32 v[18:19], -0.5, v[24:25]
	v_add_f64 v[24:25], v[88:89], -v[80:81]
	v_add_f64 v[26:27], v[92:93], -v[100:101]
	v_add_f64 v[42:43], v[24:25], v[26:27]
	v_fma_f64 v[24:25], s[14:15], v[34:35], v[16:17]
	v_fma_f64 v[26:27], s[8:9], v[38:39], v[18:19]
	v_fmac_f64_e32 v[16:17], s[8:9], v[34:35]
	v_fmac_f64_e32 v[18:19], s[14:15], v[38:39]
	;; [unrolled: 1-line block ×6, first 2 shown]
	ds_write_b128 v52, v[16:19] offset:3696
	v_add_f64 v[16:17], v[12:13], v[46:47]
	v_add_f64 v[18:19], v[14:15], v[44:45]
	v_fmac_f64_e32 v[20:21], s[14:15], v[32:33]
	v_fmac_f64_e32 v[22:23], s[8:9], v[36:37]
	v_add_f64 v[16:17], v[16:17], v[50:51]
	v_add_f64 v[18:19], v[18:19], v[48:49]
	v_fmac_f64_e32 v[24:25], s[0:1], v[32:33]
	v_fmac_f64_e32 v[26:27], s[10:11], v[36:37]
	;; [unrolled: 1-line block ×4, first 2 shown]
	v_add_f64 v[16:17], v[16:17], v[74:75]
	v_add_f64 v[18:19], v[18:19], v[72:73]
	v_fmac_f64_e32 v[24:25], s[2:3], v[40:41]
	v_fmac_f64_e32 v[26:27], s[2:3], v[42:43]
	;; [unrolled: 1-line block ×4, first 2 shown]
	v_add_f64 v[16:17], v[16:17], v[78:79]
	v_add_f64 v[18:19], v[18:19], v[76:77]
	v_accvgpr_read_b32 v40, a255
	ds_write_b128 v52, v[24:27] offset:2464
	ds_write_b128 v52, v[20:23] offset:4928
	;; [unrolled: 1-line block ×3, first 2 shown]
	v_add_f64 v[16:17], v[46:47], -v[50:51]
	v_add_f64 v[18:19], v[78:79], -v[74:75]
	v_add_f64 v[24:25], v[16:17], v[18:19]
	v_add_f64 v[16:17], v[50:51], v[74:75]
	;; [unrolled: 1-line block ×3, first 2 shown]
	v_fma_f64 v[16:17], -0.5, v[16:17], v[12:13]
	v_fma_f64 v[18:19], -0.5, v[18:19], v[14:15]
	v_add_f64 v[20:21], v[44:45], -v[48:49]
	v_add_f64 v[22:23], v[76:77], -v[72:73]
	;; [unrolled: 1-line block ×4, first 2 shown]
	v_add_f64 v[26:27], v[20:21], v[22:23]
	v_add_f64 v[30:31], v[48:49], -v[72:73]
	v_fma_f64 v[20:21], s[8:9], v[28:29], v[16:17]
	v_fma_f64 v[22:23], s[14:15], v[32:33], v[18:19]
	v_add_f64 v[34:35], v[50:51], -v[74:75]
	v_fmac_f64_e32 v[20:21], s[0:1], v[30:31]
	v_fmac_f64_e32 v[22:23], s[10:11], v[34:35]
	;; [unrolled: 1-line block ×4, first 2 shown]
	ds_write_b128 v40, v[20:23] offset:25872
	v_add_f64 v[20:21], v[46:47], v[78:79]
	v_fmac_f64_e32 v[12:13], -0.5, v[20:21]
	v_add_f64 v[20:21], v[50:51], -v[46:47]
	v_add_f64 v[22:23], v[74:75], -v[78:79]
	v_add_f64 v[36:37], v[20:21], v[22:23]
	v_add_f64 v[20:21], v[44:45], v[76:77]
	v_fmac_f64_e32 v[14:15], -0.5, v[20:21]
	v_add_f64 v[20:21], v[48:49], -v[44:45]
	v_add_f64 v[22:23], v[72:73], -v[76:77]
	v_add_f64 v[38:39], v[20:21], v[22:23]
	v_fma_f64 v[20:21], s[14:15], v[30:31], v[12:13]
	v_fma_f64 v[22:23], s[8:9], v[34:35], v[14:15]
	v_fmac_f64_e32 v[12:13], s[8:9], v[30:31]
	v_fmac_f64_e32 v[14:15], s[14:15], v[34:35]
	;; [unrolled: 1-line block ×16, first 2 shown]
	ds_write_b128 v40, v[20:23] offset:27104
	ds_write_b128 v40, v[12:15] offset:28336
	;; [unrolled: 1-line block ×3, first 2 shown]
	s_waitcnt lgkmcnt(0)
	; wave barrier
	s_waitcnt lgkmcnt(0)
	ds_read_b128 v[16:19], v180 offset:6160
	ds_read_b128 v[12:15], v180 offset:5280
	v_accvgpr_read_b32 v20, a202
	v_accvgpr_read_b32 v22, a204
	v_accvgpr_read_b32 v23, a205
	v_accvgpr_read_b32 v21, a203
	s_waitcnt lgkmcnt(1)
	v_mul_f64 v[46:47], v[22:23], v[18:19]
	v_fmac_f64_e32 v[46:47], v[20:21], v[16:17]
	v_mul_f64 v[16:17], v[22:23], v[16:17]
	v_fma_f64 v[44:45], v[20:21], v[18:19], -v[16:17]
	ds_read_b128 v[16:19], v180 offset:12320
	ds_read_b128 v[22:25], v180 offset:13200
	v_accvgpr_read_b32 v26, a206
	v_accvgpr_read_b32 v28, a208
	v_accvgpr_read_b32 v29, a209
	v_accvgpr_read_b32 v27, a207
	s_waitcnt lgkmcnt(1)
	v_mul_f64 v[120:121], v[28:29], v[18:19]
	v_fmac_f64_e32 v[120:121], v[26:27], v[16:17]
	v_mul_f64 v[16:17], v[28:29], v[16:17]
	v_fma_f64 v[118:119], v[26:27], v[18:19], -v[16:17]
	;; [unrolled: 11-line block ×5, first 2 shown]
	v_accvgpr_read_b32 v34, a232
	v_accvgpr_read_b32 v36, a234
	;; [unrolled: 1-line block ×4, first 2 shown]
	v_mul_f64 v[48:49], v[36:37], v[24:25]
	v_mul_f64 v[18:19], v[36:37], v[22:23]
	v_fmac_f64_e32 v[48:49], v[34:35], v[22:23]
	v_fma_f64 v[18:19], v[34:35], v[24:25], -v[18:19]
	ds_read_b128 v[22:25], v180 offset:19360
	ds_read_b128 v[34:37], v180 offset:20240
	v_accvgpr_read_b32 v38, a236
	v_accvgpr_read_b32 v40, a238
	;; [unrolled: 1-line block ×4, first 2 shown]
	s_waitcnt lgkmcnt(1)
	v_mul_f64 v[116:117], v[40:41], v[24:25]
	v_accvgpr_read_b32 v50, a240
	v_fmac_f64_e32 v[116:117], v[38:39], v[22:23]
	v_mul_f64 v[22:23], v[40:41], v[22:23]
	v_accvgpr_read_b32 v52, a242
	v_accvgpr_read_b32 v53, a243
	v_accvgpr_read_b32 v59, a3
	v_fma_f64 v[40:41], v[38:39], v[24:25], -v[22:23]
	v_accvgpr_read_b32 v51, a241
	v_mul_f64 v[54:55], v[52:53], v[28:29]
	v_mul_f64 v[22:23], v[52:53], v[26:27]
	v_accvgpr_read_b32 v58, a2
	v_fmac_f64_e32 v[54:55], v[50:51], v[26:27]
	v_fma_f64 v[50:51], v[50:51], v[28:29], -v[22:23]
	v_accvgpr_read_b32 v57, a1
	v_accvgpr_read_b32 v56, a0
	v_mul_f64 v[26:27], v[58:59], v[32:33]
	v_mul_f64 v[22:23], v[58:59], v[30:31]
	v_fmac_f64_e32 v[26:27], v[56:57], v[30:31]
	v_fma_f64 v[22:23], v[56:57], v[32:33], -v[22:23]
	ds_read_b128 v[28:31], v180 offset:14080
	ds_read_b128 v[56:59], v180 offset:14960
	v_accvgpr_read_b32 v60, a244
	v_accvgpr_read_b32 v62, a246
	;; [unrolled: 1-line block ×4, first 2 shown]
	s_waitcnt lgkmcnt(1)
	v_mul_f64 v[32:33], v[62:63], v[30:31]
	v_mul_f64 v[24:25], v[62:63], v[28:29]
	v_fmac_f64_e32 v[32:33], v[60:61], v[28:29]
	v_fma_f64 v[24:25], v[60:61], v[30:31], -v[24:25]
	v_accvgpr_read_b32 v60, a250
	v_accvgpr_read_b32 v62, a252
	v_accvgpr_read_b32 v63, a253
	v_accvgpr_read_b32 v61, a251
	v_mul_f64 v[38:39], v[62:63], v[36:37]
	v_mul_f64 v[28:29], v[62:63], v[34:35]
	v_fmac_f64_e32 v[38:39], v[60:61], v[34:35]
	v_fma_f64 v[28:29], v[60:61], v[36:37], -v[28:29]
	ds_read_b128 v[34:37], v180 offset:26400
	ds_read_b128 v[62:65], v180 offset:27280
	v_accvgpr_read_b32 v69, a7
	v_accvgpr_read_b32 v68, a6
	;; [unrolled: 1-line block ×4, first 2 shown]
	s_waitcnt lgkmcnt(1)
	v_mul_f64 v[42:43], v[68:69], v[36:37]
	v_mul_f64 v[30:31], v[68:69], v[34:35]
	v_fmac_f64_e32 v[42:43], v[66:67], v[34:35]
	v_fma_f64 v[36:37], v[66:67], v[36:37], -v[30:31]
	ds_read_b128 v[66:69], v180 offset:8800
	ds_read_b128 v[76:79], v180 offset:9680
	v_accvgpr_read_b32 v70, a226
	v_accvgpr_read_b32 v72, a228
	;; [unrolled: 1-line block ×4, first 2 shown]
	s_waitcnt lgkmcnt(1)
	v_mul_f64 v[30:31], v[72:73], v[68:69]
	v_mul_f64 v[34:35], v[72:73], v[66:67]
	v_fmac_f64_e32 v[30:31], v[70:71], v[66:67]
	v_fma_f64 v[34:35], v[70:71], v[68:69], -v[34:35]
	ds_read_b128 v[66:69], v180 offset:21120
	ds_read_b128 v[80:83], v180 offset:22000
	v_mul_f64 v[60:61], v[222:223], v[58:59]
	v_mul_f64 v[52:53], v[222:223], v[56:57]
	v_fmac_f64_e32 v[60:61], v[220:221], v[56:57]
	v_fma_f64 v[56:57], v[220:221], v[58:59], -v[52:53]
	s_waitcnt lgkmcnt(1)
	v_mul_f64 v[52:53], v[214:215], v[66:67]
	v_mul_f64 v[72:73], v[214:215], v[68:69]
	v_fma_f64 v[58:59], v[212:213], v[68:69], -v[52:53]
	ds_read_b128 v[68:71], v180 offset:15840
	ds_read_b128 v[88:91], v180 offset:16720
	v_mul_f64 v[74:75], v[210:211], v[64:65]
	v_mul_f64 v[52:53], v[210:211], v[62:63]
	v_fmac_f64_e32 v[74:75], v[208:209], v[62:63]
	v_fma_f64 v[64:65], v[208:209], v[64:65], -v[52:53]
	v_mul_f64 v[62:63], v[246:247], v[78:79]
	v_mul_f64 v[52:53], v[246:247], v[76:77]
	v_fmac_f64_e32 v[72:73], v[212:213], v[66:67]
	v_fmac_f64_e32 v[62:63], v[244:245], v[76:77]
	v_fma_f64 v[66:67], v[244:245], v[78:79], -v[52:53]
	s_waitcnt lgkmcnt(1)
	v_mul_f64 v[76:77], v[238:239], v[70:71]
	v_mul_f64 v[52:53], v[238:239], v[68:69]
	v_mul_f64 v[84:85], v[234:235], v[82:83]
	v_fmac_f64_e32 v[76:77], v[236:237], v[68:69]
	v_fma_f64 v[68:69], v[236:237], v[70:71], -v[52:53]
	v_fmac_f64_e32 v[84:85], v[232:233], v[80:81]
	v_mul_f64 v[52:53], v[234:235], v[80:81]
	ds_read_b128 v[78:81], v180 offset:28160
	ds_read_b128 v[104:107], v180 offset:29040
	;; [unrolled: 1-line block ×4, first 2 shown]
	v_fma_f64 v[70:71], v[232:233], v[82:83], -v[52:53]
	s_waitcnt lgkmcnt(4)
	v_mul_f64 v[96:97], v[250:251], v[90:91]
	s_waitcnt lgkmcnt(3)
	v_mul_f64 v[52:53], v[202:203], v[78:79]
	v_mul_f64 v[86:87], v[202:203], v[80:81]
	v_fma_f64 v[80:81], v[200:201], v[80:81], -v[52:53]
	s_waitcnt lgkmcnt(1)
	v_mul_f64 v[52:53], v[242:243], v[92:93]
	v_fmac_f64_e32 v[86:87], v[200:201], v[78:79]
	v_mul_f64 v[78:79], v[242:243], v[94:95]
	v_fma_f64 v[82:83], v[240:241], v[94:95], -v[52:53]
	v_mul_f64 v[52:53], v[250:251], v[88:89]
	v_fmac_f64_e32 v[78:79], v[240:241], v[92:93]
	v_fmac_f64_e32 v[96:97], v[248:249], v[88:89]
	v_fma_f64 v[88:89], v[248:249], v[90:91], -v[52:53]
	ds_read_b128 v[90:93], v180 offset:22880
	ds_read_b128 v[130:133], v180 offset:23760
	v_mul_f64 v[114:115], v[226:227], v[106:107]
	v_fmac_f64_e32 v[114:115], v[224:225], v[104:105]
	v_add_f64 v[136:137], v[44:45], -v[126:127]
	s_waitcnt lgkmcnt(1)
	v_mul_f64 v[112:113], v[230:231], v[92:93]
	v_mul_f64 v[52:53], v[230:231], v[90:91]
	v_fmac_f64_e32 v[112:113], v[228:229], v[90:91]
	v_fma_f64 v[92:93], v[228:229], v[92:93], -v[52:53]
	v_mul_f64 v[52:53], v[226:227], v[104:105]
	v_mul_f64 v[90:91], v[254:255], v[110:111]
	v_fma_f64 v[98:99], v[224:225], v[106:107], -v[52:53]
	v_fmac_f64_e32 v[90:91], v[252:253], v[108:109]
	v_mul_f64 v[52:53], v[254:255], v[108:109]
	v_mul_f64 v[104:105], v[10:11], v[102:103]
	;; [unrolled: 1-line block ×3, first 2 shown]
	s_waitcnt lgkmcnt(0)
	v_mul_f64 v[108:109], v[6:7], v[132:133]
	v_mul_f64 v[6:7], v[6:7], v[130:131]
	v_fmac_f64_e32 v[104:105], v[8:9], v[100:101]
	v_fma_f64 v[100:101], v[8:9], v[102:103], -v[10:11]
	v_fmac_f64_e32 v[108:109], v[4:5], v[130:131]
	v_fma_f64 v[102:103], v[4:5], v[132:133], -v[6:7]
	ds_read_b128 v[4:7], v180 offset:29920
	v_fma_f64 v[94:95], v[252:253], v[110:111], -v[52:53]
	v_add_f64 v[130:131], v[44:45], -v[118:119]
	v_add_f64 v[132:133], v[126:127], -v[122:123]
	v_add_f64 v[140:141], v[46:47], -v[128:129]
	s_waitcnt lgkmcnt(0)
	v_mul_f64 v[110:111], v[2:3], v[6:7]
	v_mul_f64 v[2:3], v[2:3], v[4:5]
	v_fmac_f64_e32 v[110:111], v[0:1], v[4:5]
	v_fma_f64 v[106:107], v[0:1], v[6:7], -v[2:3]
	ds_read_b128 v[4:7], v180
	ds_read_b128 v[0:3], v180 offset:880
	v_add_f64 v[134:135], v[130:131], v[132:133]
	v_add_f64 v[138:139], v[118:119], -v[122:123]
	v_add_f64 v[142:143], v[120:121], -v[124:125]
	s_waitcnt lgkmcnt(1)
	v_add_f64 v[8:9], v[4:5], v[46:47]
	v_add_f64 v[10:11], v[6:7], v[44:45]
	;; [unrolled: 1-line block ×8, first 2 shown]
	ds_write_b128 v180, v[8:11]
	v_add_f64 v[8:9], v[46:47], -v[120:121]
	v_add_f64 v[10:11], v[128:129], -v[124:125]
	v_add_f64 v[52:53], v[8:9], v[10:11]
	v_add_f64 v[8:9], v[120:121], v[124:125]
	;; [unrolled: 1-line block ×3, first 2 shown]
	v_fma_f64 v[8:9], -0.5, v[8:9], v[4:5]
	v_fma_f64 v[10:11], -0.5, v[10:11], v[6:7]
	v_fma_f64 v[130:131], s[8:9], v[136:137], v[8:9]
	v_fma_f64 v[132:133], s[14:15], v[140:141], v[10:11]
	v_fmac_f64_e32 v[130:131], s[0:1], v[138:139]
	v_fmac_f64_e32 v[132:133], s[10:11], v[142:143]
	;; [unrolled: 1-line block ×4, first 2 shown]
	ds_write_b128 v180, v[130:133] offset:6160
	v_add_f64 v[130:131], v[46:47], v[128:129]
	v_add_f64 v[46:47], v[120:121], -v[46:47]
	v_add_f64 v[120:121], v[124:125], -v[128:129]
	v_add_f64 v[120:121], v[46:47], v[120:121]
	v_add_f64 v[46:47], v[44:45], v[126:127]
	v_fmac_f64_e32 v[4:5], -0.5, v[130:131]
	v_fmac_f64_e32 v[6:7], -0.5, v[46:47]
	v_add_f64 v[44:45], v[118:119], -v[44:45]
	v_add_f64 v[46:47], v[122:123], -v[126:127]
	v_add_f64 v[118:119], v[44:45], v[46:47]
	v_fma_f64 v[44:45], s[14:15], v[138:139], v[4:5]
	v_fma_f64 v[46:47], s[8:9], v[142:143], v[6:7]
	v_fmac_f64_e32 v[4:5], s[8:9], v[138:139]
	v_fmac_f64_e32 v[6:7], s[14:15], v[142:143]
	;; [unrolled: 1-line block ×8, first 2 shown]
	ds_write_b128 v180, v[4:7] offset:18480
	v_fmac_f64_e32 v[8:9], s[14:15], v[136:137]
	v_fmac_f64_e32 v[10:11], s[8:9], v[140:141]
	v_add_f64 v[4:5], v[20:21], -v[48:49]
	v_add_f64 v[6:7], v[54:55], -v[116:117]
	v_fmac_f64_e32 v[44:45], s[2:3], v[120:121]
	v_fmac_f64_e32 v[46:47], s[2:3], v[118:119]
	v_fmac_f64_e32 v[8:9], s[10:11], v[138:139]
	v_fmac_f64_e32 v[10:11], s[0:1], v[142:143]
	v_add_f64 v[4:5], v[4:5], v[6:7]
	v_add_f64 v[6:7], v[48:49], v[116:117]
	ds_write_b128 v180, v[44:47] offset:12320
	v_fmac_f64_e32 v[8:9], s[2:3], v[52:53]
	v_fmac_f64_e32 v[10:11], s[2:3], v[134:135]
	s_waitcnt lgkmcnt(4)
	v_fma_f64 v[44:45], -0.5, v[6:7], v[0:1]
	v_add_f64 v[6:7], v[16:17], -v[50:51]
	ds_write_b128 v180, v[8:11] offset:24640
	v_add_f64 v[10:11], v[18:19], -v[40:41]
	v_fma_f64 v[8:9], s[8:9], v[6:7], v[44:45]
	v_fmac_f64_e32 v[44:45], s[14:15], v[6:7]
	v_fmac_f64_e32 v[8:9], s[0:1], v[10:11]
	v_fmac_f64_e32 v[44:45], s[10:11], v[10:11]
	v_add_f64 v[46:47], v[20:21], v[54:55]
	v_fmac_f64_e32 v[8:9], s[2:3], v[4:5]
	v_fmac_f64_e32 v[44:45], s[2:3], v[4:5]
	v_add_f64 v[4:5], v[0:1], v[20:21]
	v_fmac_f64_e32 v[0:1], -0.5, v[46:47]
	v_add_f64 v[46:47], v[48:49], -v[20:21]
	v_add_f64 v[52:53], v[116:117], -v[54:55]
	v_add_f64 v[46:47], v[46:47], v[52:53]
	v_fma_f64 v[52:53], s[14:15], v[10:11], v[0:1]
	v_fmac_f64_e32 v[0:1], s[8:9], v[10:11]
	v_add_f64 v[4:5], v[4:5], v[48:49]
	v_fmac_f64_e32 v[52:53], s[0:1], v[6:7]
	v_fmac_f64_e32 v[0:1], s[10:11], v[6:7]
	v_add_f64 v[4:5], v[4:5], v[116:117]
	v_add_f64 v[10:11], v[18:19], v[40:41]
	v_fmac_f64_e32 v[52:53], s[2:3], v[46:47]
	v_fmac_f64_e32 v[0:1], s[2:3], v[46:47]
	v_add_f64 v[6:7], v[2:3], v[16:17]
	v_add_f64 v[4:5], v[4:5], v[54:55]
	v_fma_f64 v[46:47], -0.5, v[10:11], v[2:3]
	v_add_f64 v[20:21], v[20:21], -v[54:55]
	v_add_f64 v[10:11], v[16:17], -v[18:19]
	;; [unrolled: 1-line block ×3, first 2 shown]
	v_add_f64 v[6:7], v[6:7], v[18:19]
	v_add_f64 v[48:49], v[48:49], -v[116:117]
	v_add_f64 v[54:55], v[10:11], v[54:55]
	v_fma_f64 v[10:11], s[14:15], v[20:21], v[46:47]
	v_fmac_f64_e32 v[46:47], s[8:9], v[20:21]
	v_add_f64 v[6:7], v[6:7], v[40:41]
	v_fmac_f64_e32 v[10:11], s[10:11], v[48:49]
	v_fmac_f64_e32 v[46:47], s[0:1], v[48:49]
	v_add_f64 v[6:7], v[6:7], v[50:51]
	v_fmac_f64_e32 v[10:11], s[2:3], v[54:55]
	v_fmac_f64_e32 v[46:47], s[2:3], v[54:55]
	v_add_f64 v[54:55], v[16:17], v[50:51]
	v_fmac_f64_e32 v[2:3], -0.5, v[54:55]
	ds_write_b128 v180, v[4:7] offset:880
	ds_read_b128 v[4:7], v180 offset:1760
	v_add_f64 v[16:17], v[18:19], -v[16:17]
	v_add_f64 v[18:19], v[40:41], -v[50:51]
	v_fma_f64 v[54:55], s[8:9], v[48:49], v[2:3]
	v_fmac_f64_e32 v[2:3], s[14:15], v[48:49]
	v_add_f64 v[16:17], v[16:17], v[18:19]
	v_fmac_f64_e32 v[54:55], s[10:11], v[20:21]
	v_fmac_f64_e32 v[2:3], s[0:1], v[20:21]
	;; [unrolled: 1-line block ×4, first 2 shown]
	v_add_f64 v[16:17], v[26:27], -v[32:33]
	v_add_f64 v[18:19], v[42:43], -v[38:39]
	v_add_f64 v[18:19], v[16:17], v[18:19]
	v_add_f64 v[16:17], v[32:33], v[38:39]
	ds_write_b128 v180, v[8:11] offset:7040
	ds_read_b128 v[8:11], v180 offset:2640
	s_waitcnt lgkmcnt(2)
	v_fma_f64 v[16:17], -0.5, v[16:17], v[4:5]
	v_add_f64 v[48:49], v[22:23], -v[36:37]
	v_add_f64 v[50:51], v[24:25], -v[28:29]
	v_fma_f64 v[40:41], s[8:9], v[48:49], v[16:17]
	v_fmac_f64_e32 v[16:17], s[14:15], v[48:49]
	v_fmac_f64_e32 v[40:41], s[0:1], v[50:51]
	;; [unrolled: 1-line block ×3, first 2 shown]
	v_add_f64 v[20:21], v[26:27], v[42:43]
	v_fmac_f64_e32 v[40:41], s[2:3], v[18:19]
	v_fmac_f64_e32 v[16:17], s[2:3], v[18:19]
	v_add_f64 v[18:19], v[4:5], v[26:27]
	v_fmac_f64_e32 v[4:5], -0.5, v[20:21]
	v_add_f64 v[20:21], v[32:33], -v[26:27]
	v_add_f64 v[116:117], v[38:39], -v[42:43]
	v_add_f64 v[116:117], v[20:21], v[116:117]
	v_fma_f64 v[20:21], s[14:15], v[50:51], v[4:5]
	v_fmac_f64_e32 v[4:5], s[8:9], v[50:51]
	v_fmac_f64_e32 v[20:21], s[0:1], v[48:49]
	;; [unrolled: 1-line block ×3, first 2 shown]
	v_add_f64 v[18:19], v[18:19], v[32:33]
	v_add_f64 v[48:49], v[6:7], v[22:23]
	;; [unrolled: 1-line block ×7, first 2 shown]
	v_fma_f64 v[18:19], -0.5, v[18:19], v[6:7]
	v_add_f64 v[26:27], v[26:27], -v[42:43]
	v_add_f64 v[32:33], v[32:33], -v[38:39]
	;; [unrolled: 1-line block ×4, first 2 shown]
	v_add_f64 v[38:39], v[38:39], v[42:43]
	v_fma_f64 v[42:43], s[14:15], v[26:27], v[18:19]
	v_fmac_f64_e32 v[18:19], s[8:9], v[26:27]
	v_fmac_f64_e32 v[42:43], s[10:11], v[32:33]
	;; [unrolled: 1-line block ×5, first 2 shown]
	v_add_f64 v[38:39], v[22:23], v[36:37]
	v_fmac_f64_e32 v[6:7], -0.5, v[38:39]
	v_add_f64 v[22:23], v[24:25], -v[22:23]
	v_add_f64 v[24:25], v[28:29], -v[36:37]
	v_add_f64 v[24:25], v[22:23], v[24:25]
	v_fma_f64 v[22:23], s[8:9], v[32:33], v[6:7]
	v_fmac_f64_e32 v[6:7], s[14:15], v[32:33]
	v_fmac_f64_e32 v[22:23], s[10:11], v[26:27]
	;; [unrolled: 1-line block ×5, first 2 shown]
	v_add_f64 v[24:25], v[30:31], -v[60:61]
	v_add_f64 v[26:27], v[74:75], -v[72:73]
	v_add_f64 v[26:27], v[24:25], v[26:27]
	v_add_f64 v[24:25], v[60:61], v[72:73]
	;; [unrolled: 1-line block ×3, first 2 shown]
	s_waitcnt lgkmcnt(0)
	v_fma_f64 v[24:25], -0.5, v[24:25], v[8:9]
	v_add_f64 v[36:37], v[34:35], -v[64:65]
	v_add_f64 v[38:39], v[56:57], -v[58:59]
	v_fma_f64 v[28:29], s[8:9], v[36:37], v[24:25]
	v_fmac_f64_e32 v[24:25], s[14:15], v[36:37]
	v_fmac_f64_e32 v[28:29], s[0:1], v[38:39]
	;; [unrolled: 1-line block ×3, first 2 shown]
	v_add_f64 v[32:33], v[30:31], v[74:75]
	v_fmac_f64_e32 v[20:21], s[2:3], v[116:117]
	v_fmac_f64_e32 v[4:5], s[2:3], v[116:117]
	;; [unrolled: 1-line block ×4, first 2 shown]
	v_add_f64 v[26:27], v[8:9], v[30:31]
	v_fmac_f64_e32 v[8:9], -0.5, v[32:33]
	v_add_f64 v[32:33], v[60:61], -v[30:31]
	v_add_f64 v[116:117], v[72:73], -v[74:75]
	v_add_f64 v[116:117], v[32:33], v[116:117]
	v_fma_f64 v[32:33], s[14:15], v[38:39], v[8:9]
	v_fmac_f64_e32 v[8:9], s[8:9], v[38:39]
	v_fmac_f64_e32 v[32:33], s[0:1], v[36:37]
	;; [unrolled: 1-line block ×3, first 2 shown]
	v_add_f64 v[26:27], v[26:27], v[60:61]
	v_add_f64 v[36:37], v[10:11], v[34:35]
	;; [unrolled: 1-line block ×7, first 2 shown]
	v_fma_f64 v[26:27], -0.5, v[26:27], v[10:11]
	v_add_f64 v[74:75], v[30:31], -v[74:75]
	v_add_f64 v[60:61], v[60:61], -v[72:73]
	;; [unrolled: 1-line block ×4, first 2 shown]
	v_add_f64 v[72:73], v[30:31], v[72:73]
	v_fma_f64 v[30:31], s[14:15], v[74:75], v[26:27]
	v_fmac_f64_e32 v[26:27], s[8:9], v[74:75]
	v_fmac_f64_e32 v[30:31], s[10:11], v[60:61]
	;; [unrolled: 1-line block ×5, first 2 shown]
	v_add_f64 v[72:73], v[34:35], v[64:65]
	v_fmac_f64_e32 v[10:11], -0.5, v[72:73]
	v_add_f64 v[34:35], v[56:57], -v[34:35]
	v_add_f64 v[56:57], v[58:59], -v[64:65]
	ds_write_b128 v180, v[52:55] offset:13200
	ds_read_b128 v[52:55], v180 offset:3520
	v_add_f64 v[56:57], v[34:35], v[56:57]
	v_fma_f64 v[34:35], s[8:9], v[60:61], v[10:11]
	v_fmac_f64_e32 v[10:11], s[14:15], v[60:61]
	v_fmac_f64_e32 v[34:35], s[10:11], v[74:75]
	;; [unrolled: 1-line block ×5, first 2 shown]
	v_add_f64 v[56:57], v[62:63], -v[76:77]
	v_add_f64 v[58:59], v[86:87], -v[84:85]
	v_add_f64 v[58:59], v[56:57], v[58:59]
	v_add_f64 v[56:57], v[76:77], v[84:85]
	ds_write_b128 v180, v[0:3] offset:19360
	ds_read_b128 v[0:3], v180 offset:4400
	s_waitcnt lgkmcnt(2)
	v_fma_f64 v[56:57], -0.5, v[56:57], v[52:53]
	v_add_f64 v[72:73], v[66:67], -v[80:81]
	v_add_f64 v[74:75], v[68:69], -v[70:71]
	v_fma_f64 v[60:61], s[8:9], v[72:73], v[56:57]
	v_fmac_f64_e32 v[56:57], s[14:15], v[72:73]
	v_add_f64 v[38:39], v[38:39], v[64:65]
	v_fmac_f64_e32 v[60:61], s[0:1], v[74:75]
	v_fmac_f64_e32 v[56:57], s[10:11], v[74:75]
	v_add_f64 v[64:65], v[62:63], v[86:87]
	v_fmac_f64_e32 v[32:33], s[2:3], v[116:117]
	v_fmac_f64_e32 v[8:9], s[2:3], v[116:117]
	;; [unrolled: 1-line block ×4, first 2 shown]
	v_add_f64 v[58:59], v[52:53], v[62:63]
	v_fmac_f64_e32 v[52:53], -0.5, v[64:65]
	v_add_f64 v[64:65], v[76:77], -v[62:63]
	v_add_f64 v[116:117], v[84:85], -v[86:87]
	v_add_f64 v[116:117], v[64:65], v[116:117]
	v_fma_f64 v[64:65], s[14:15], v[74:75], v[52:53]
	v_fmac_f64_e32 v[52:53], s[8:9], v[74:75]
	v_fmac_f64_e32 v[64:65], s[0:1], v[72:73]
	;; [unrolled: 1-line block ×3, first 2 shown]
	v_add_f64 v[58:59], v[58:59], v[76:77]
	v_add_f64 v[72:73], v[54:55], v[66:67]
	;; [unrolled: 1-line block ×7, first 2 shown]
	v_fma_f64 v[58:59], -0.5, v[58:59], v[54:55]
	v_add_f64 v[86:87], v[62:63], -v[86:87]
	v_add_f64 v[76:77], v[76:77], -v[84:85]
	;; [unrolled: 1-line block ×4, first 2 shown]
	v_add_f64 v[84:85], v[62:63], v[84:85]
	v_fma_f64 v[62:63], s[14:15], v[86:87], v[58:59]
	v_fmac_f64_e32 v[58:59], s[8:9], v[86:87]
	v_fmac_f64_e32 v[62:63], s[10:11], v[76:77]
	;; [unrolled: 1-line block ×5, first 2 shown]
	v_add_f64 v[84:85], v[66:67], v[80:81]
	v_fmac_f64_e32 v[54:55], -0.5, v[84:85]
	v_add_f64 v[66:67], v[68:69], -v[66:67]
	v_add_f64 v[68:69], v[70:71], -v[80:81]
	v_add_f64 v[68:69], v[66:67], v[68:69]
	v_fma_f64 v[66:67], s[8:9], v[76:77], v[54:55]
	v_fmac_f64_e32 v[54:55], s[14:15], v[76:77]
	v_fmac_f64_e32 v[66:67], s[10:11], v[86:87]
	;; [unrolled: 1-line block ×5, first 2 shown]
	v_add_f64 v[68:69], v[78:79], -v[96:97]
	v_add_f64 v[70:71], v[114:115], -v[112:113]
	v_add_f64 v[70:71], v[68:69], v[70:71]
	v_add_f64 v[68:69], v[96:97], v[112:113]
	s_waitcnt lgkmcnt(0)
	v_fma_f64 v[68:69], -0.5, v[68:69], v[0:1]
	v_add_f64 v[84:85], v[82:83], -v[98:99]
	v_add_f64 v[86:87], v[88:89], -v[92:93]
	v_fma_f64 v[76:77], s[8:9], v[84:85], v[68:69]
	v_fmac_f64_e32 v[68:69], s[14:15], v[84:85]
	v_add_f64 v[74:75], v[74:75], v[80:81]
	v_fmac_f64_e32 v[76:77], s[0:1], v[86:87]
	v_fmac_f64_e32 v[68:69], s[10:11], v[86:87]
	v_add_f64 v[80:81], v[78:79], v[114:115]
	v_fmac_f64_e32 v[64:65], s[2:3], v[116:117]
	v_fmac_f64_e32 v[52:53], s[2:3], v[116:117]
	;; [unrolled: 1-line block ×4, first 2 shown]
	v_add_f64 v[70:71], v[0:1], v[78:79]
	v_fmac_f64_e32 v[0:1], -0.5, v[80:81]
	v_add_f64 v[80:81], v[96:97], -v[78:79]
	v_add_f64 v[116:117], v[112:113], -v[114:115]
	v_add_f64 v[116:117], v[80:81], v[116:117]
	v_fma_f64 v[80:81], s[14:15], v[86:87], v[0:1]
	v_fmac_f64_e32 v[0:1], s[8:9], v[86:87]
	v_fmac_f64_e32 v[80:81], s[0:1], v[84:85]
	;; [unrolled: 1-line block ×3, first 2 shown]
	v_add_f64 v[70:71], v[70:71], v[96:97]
	v_add_f64 v[84:85], v[2:3], v[82:83]
	v_add_f64 v[70:71], v[70:71], v[112:113]
	v_add_f64 v[84:85], v[84:85], v[88:89]
	v_add_f64 v[86:87], v[84:85], v[92:93]
	v_add_f64 v[84:85], v[70:71], v[114:115]
	v_add_f64 v[70:71], v[88:89], v[92:93]
	v_fma_f64 v[70:71], -0.5, v[70:71], v[2:3]
	v_add_f64 v[114:115], v[78:79], -v[114:115]
	v_add_f64 v[96:97], v[96:97], -v[112:113]
	;; [unrolled: 1-line block ×4, first 2 shown]
	v_add_f64 v[112:113], v[78:79], v[112:113]
	v_fma_f64 v[78:79], s[14:15], v[114:115], v[70:71]
	v_fmac_f64_e32 v[70:71], s[8:9], v[114:115]
	v_fmac_f64_e32 v[78:79], s[10:11], v[96:97]
	;; [unrolled: 1-line block ×5, first 2 shown]
	v_add_f64 v[112:113], v[82:83], v[98:99]
	v_fmac_f64_e32 v[2:3], -0.5, v[112:113]
	v_add_f64 v[82:83], v[88:89], -v[82:83]
	v_add_f64 v[88:89], v[92:93], -v[98:99]
	v_add_f64 v[88:89], v[82:83], v[88:89]
	v_fma_f64 v[82:83], s[8:9], v[96:97], v[2:3]
	v_fmac_f64_e32 v[2:3], s[14:15], v[96:97]
	v_fmac_f64_e32 v[82:83], s[10:11], v[114:115]
	;; [unrolled: 1-line block ×5, first 2 shown]
	v_add_f64 v[88:89], v[104:105], v[108:109]
	ds_write_b128 v180, v[44:47] offset:25520
	v_add_f64 v[44:45], v[90:91], -v[104:105]
	v_add_f64 v[46:47], v[110:111], -v[108:109]
	v_add_f64 v[46:47], v[44:45], v[46:47]
	v_fma_f64 v[44:45], -0.5, v[88:89], v[12:13]
	v_add_f64 v[96:97], v[94:95], -v[106:107]
	v_add_f64 v[86:87], v[86:87], v[98:99]
	v_add_f64 v[98:99], v[100:101], -v[102:103]
	v_fma_f64 v[88:89], s[8:9], v[96:97], v[44:45]
	v_fmac_f64_e32 v[44:45], s[14:15], v[96:97]
	v_fmac_f64_e32 v[88:89], s[0:1], v[98:99]
	;; [unrolled: 1-line block ×3, first 2 shown]
	v_add_f64 v[92:93], v[90:91], v[110:111]
	v_fmac_f64_e32 v[88:89], s[2:3], v[46:47]
	v_fmac_f64_e32 v[44:45], s[2:3], v[46:47]
	v_add_f64 v[46:47], v[12:13], v[90:91]
	v_fmac_f64_e32 v[12:13], -0.5, v[92:93]
	v_add_f64 v[92:93], v[104:105], -v[90:91]
	v_add_f64 v[112:113], v[108:109], -v[110:111]
	v_add_f64 v[112:113], v[92:93], v[112:113]
	v_fma_f64 v[92:93], s[14:15], v[98:99], v[12:13]
	v_fmac_f64_e32 v[12:13], s[8:9], v[98:99]
	v_fmac_f64_e32 v[92:93], s[0:1], v[96:97]
	;; [unrolled: 1-line block ×3, first 2 shown]
	v_add_f64 v[46:47], v[46:47], v[104:105]
	v_add_f64 v[96:97], v[14:15], v[94:95]
	;; [unrolled: 1-line block ×7, first 2 shown]
	v_fma_f64 v[46:47], -0.5, v[46:47], v[14:15]
	v_add_f64 v[110:111], v[90:91], -v[110:111]
	v_add_f64 v[104:105], v[104:105], -v[108:109]
	;; [unrolled: 1-line block ×4, first 2 shown]
	v_add_f64 v[108:109], v[90:91], v[108:109]
	v_fma_f64 v[90:91], s[14:15], v[110:111], v[46:47]
	v_fmac_f64_e32 v[46:47], s[8:9], v[110:111]
	v_fmac_f64_e32 v[90:91], s[10:11], v[104:105]
	;; [unrolled: 1-line block ×5, first 2 shown]
	v_add_f64 v[108:109], v[94:95], v[106:107]
	v_fmac_f64_e32 v[14:15], -0.5, v[108:109]
	v_add_f64 v[94:95], v[100:101], -v[94:95]
	v_add_f64 v[100:101], v[102:103], -v[106:107]
	v_add_f64 v[98:99], v[98:99], v[106:107]
	v_add_f64 v[106:107], v[94:95], v[100:101]
	v_fma_f64 v[94:95], s[8:9], v[104:105], v[14:15]
	v_fmac_f64_e32 v[14:15], s[14:15], v[104:105]
	v_fmac_f64_e32 v[12:13], s[2:3], v[112:113]
	;; [unrolled: 1-line block ×9, first 2 shown]
	ds_write_b128 v180, v[48:51] offset:1760
	ds_write_b128 v180, v[40:43] offset:7920
	;; [unrolled: 1-line block ×25, first 2 shown]
	s_waitcnt lgkmcnt(0)
	; wave barrier
	s_waitcnt lgkmcnt(0)
	scratch_load_dwordx4 v[10:13], off, off offset:136 ; 16-byte Folded Reload
	scratch_load_dwordx4 v[40:43], off, off offset:88 ; 16-byte Folded Reload
	ds_read_b128 v[4:7], v180
	v_accvgpr_read_b32 v108, a248
	v_mad_u64_u32 v[102:103], s[0:1], s6, v108, 0
	v_mov_b32_e32 v104, v103
	v_mad_u64_u32 v[0:1], s[0:1], s7, v108, v[104:105]
	v_mov_b32_e32 v103, v0
	ds_read_b128 v[0:3], v180 offset:880
	scratch_load_dwordx4 v[16:19], off, off offset:8 ; 16-byte Folded Reload
	scratch_load_dwordx4 v[20:23], off, off offset:24 ; 16-byte Folded Reload
	;; [unrolled: 1-line block ×5, first 2 shown]
	s_mov_b32 s0, 0xebc93598
	s_mov_b32 s1, 0x3f4105b7
	v_mov_b32_e32 v100, s12
	v_mov_b32_e32 v101, s13
	v_lshl_add_u64 v[14:15], v[102:103], 4, v[100:101]
	v_mov_b32_e32 v38, 0x1130
	v_mov_b32_e32 v39, 0xffff9c50
	s_waitcnt vmcnt(6) lgkmcnt(1)
	v_mul_f64 v[8:9], v[12:13], v[6:7]
	v_fmac_f64_e32 v[8:9], v[10:11], v[4:5]
	v_mul_f64 v[4:5], v[12:13], v[4:5]
	v_fma_f64 v[4:5], v[10:11], v[6:7], -v[4:5]
	scratch_load_dwordx2 v[6:7], off, off   ; 8-byte Folded Reload
	v_mul_f64 v[10:11], v[4:5], s[0:1]
	v_mul_f64 v[8:9], v[8:9], s[0:1]
	s_waitcnt vmcnt(0)
	v_mad_u64_u32 v[12:13], s[2:3], s4, v6, 0
	v_mov_b32_e32 v4, v13
	v_mad_u64_u32 v[4:5], s[2:3], s5, v6, v[4:5]
	v_mov_b32_e32 v13, v4
	ds_read_b128 v[4:7], v180 offset:4400
	v_lshl_add_u64 v[12:13], v[12:13], 4, v[14:15]
	global_store_dwordx4 v[12:13], v[8:11], off
	ds_read_b128 v[8:11], v180 offset:3520
	v_mad_u64_u32 v[24:25], s[2:3], s4, v38, v[12:13]
	s_waitcnt lgkmcnt(1)
	v_mul_f64 v[14:15], v[18:19], v[6:7]
	v_fmac_f64_e32 v[14:15], v[16:17], v[4:5]
	v_mul_f64 v[4:5], v[18:19], v[4:5]
	v_fma_f64 v[4:5], v[16:17], v[6:7], -v[4:5]
	v_mul_f64 v[16:17], v[4:5], s[0:1]
	ds_read_b128 v[4:7], v180 offset:8800
	s_mul_i32 s2, s5, 0x1130
	v_mul_f64 v[14:15], v[14:15], s[0:1]
	v_add_u32_e32 v25, s2, v25
	global_store_dwordx4 v[24:25], v[14:17], off
	ds_read_b128 v[16:19], v180 offset:9680
	s_waitcnt lgkmcnt(1)
	v_mul_f64 v[12:13], v[22:23], v[6:7]
	v_fmac_f64_e32 v[12:13], v[20:21], v[4:5]
	v_mul_f64 v[4:5], v[22:23], v[4:5]
	v_fma_f64 v[4:5], v[20:21], v[6:7], -v[4:5]
	ds_read_b128 v[20:23], v180 offset:13200
	v_mad_u64_u32 v[24:25], s[6:7], s4, v38, v[24:25]
	v_mul_f64 v[12:13], v[12:13], s[0:1]
	v_mul_f64 v[14:15], v[4:5], s[0:1]
	ds_read_b128 v[4:7], v180 offset:12320
	v_add_u32_e32 v25, s2, v25
	global_store_dwordx4 v[24:25], v[12:15], off
	s_mul_i32 s3, s5, 0xffff9c50
	s_sub_i32 s3, s3, s4
	s_waitcnt lgkmcnt(1)
	v_mul_f64 v[12:13], v[28:29], v[22:23]
	v_mul_f64 v[14:15], v[28:29], v[20:21]
	v_fmac_f64_e32 v[12:13], v[26:27], v[20:21]
	v_fma_f64 v[14:15], v[26:27], v[22:23], -v[14:15]
	ds_read_b128 v[20:23], v180 offset:17600
	v_mad_u64_u32 v[28:29], s[6:7], s4, v38, v[24:25]
	ds_read_b128 v[24:27], v180 offset:18480
	v_mul_f64 v[12:13], v[12:13], s[0:1]
	v_mul_f64 v[14:15], v[14:15], s[0:1]
	v_add_u32_e32 v29, s2, v29
	global_store_dwordx4 v[28:29], v[12:15], off
	s_waitcnt lgkmcnt(1)
	s_nop 0
	v_mul_f64 v[12:13], v[32:33], v[22:23]
	v_mul_f64 v[14:15], v[32:33], v[20:21]
	v_fmac_f64_e32 v[12:13], v[30:31], v[20:21]
	v_fma_f64 v[14:15], v[30:31], v[22:23], -v[14:15]
	ds_read_b128 v[20:23], v180 offset:22000
	v_mad_u64_u32 v[32:33], s[6:7], s4, v38, v[28:29]
	v_mul_f64 v[12:13], v[12:13], s[0:1]
	v_mul_f64 v[14:15], v[14:15], s[0:1]
	v_add_u32_e32 v33, s2, v33
	global_store_dwordx4 v[32:33], v[12:15], off
	ds_read_b128 v[12:15], v180 offset:21120
	s_waitcnt lgkmcnt(1)
	v_mul_f64 v[28:29], v[36:37], v[22:23]
	v_fmac_f64_e32 v[28:29], v[34:35], v[20:21]
	v_mul_f64 v[20:21], v[36:37], v[20:21]
	v_fma_f64 v[20:21], v[34:35], v[22:23], -v[20:21]
	v_mul_f64 v[30:31], v[20:21], s[0:1]
	ds_read_b128 v[20:23], v180 offset:26400
	v_mad_u64_u32 v[36:37], s[6:7], s4, v38, v[32:33]
	v_mul_f64 v[28:29], v[28:29], s[0:1]
	v_add_u32_e32 v37, s2, v37
	global_store_dwordx4 v[36:37], v[28:31], off
	ds_read_b128 v[28:31], v180 offset:27280
	s_waitcnt lgkmcnt(1)
	v_mul_f64 v[32:33], v[42:43], v[22:23]
	v_fmac_f64_e32 v[32:33], v[40:41], v[20:21]
	v_mul_f64 v[20:21], v[42:43], v[20:21]
	v_fma_f64 v[20:21], v[40:41], v[22:23], -v[20:21]
	v_mad_u64_u32 v[36:37], s[6:7], s4, v38, v[36:37]
	v_mul_f64 v[32:33], v[32:33], s[0:1]
	v_mul_f64 v[34:35], v[20:21], s[0:1]
	v_add_u32_e32 v37, s2, v37
	global_store_dwordx4 v[36:37], v[32:35], off
	scratch_load_dwordx4 v[32:35], off, off offset:104 ; 16-byte Folded Reload
	v_mad_u64_u32 v[36:37], s[6:7], s4, v39, v[36:37]
	scratch_load_dwordx4 v[40:43], off, off offset:120 ; 16-byte Folded Reload
	v_add_u32_e32 v37, s3, v37
	s_waitcnt vmcnt(1)
	v_mul_f64 v[20:21], v[34:35], v[2:3]
	v_fmac_f64_e32 v[20:21], v[32:33], v[0:1]
	v_mul_f64 v[0:1], v[34:35], v[0:1]
	v_fma_f64 v[0:1], v[32:33], v[2:3], -v[0:1]
	v_mul_f64 v[22:23], v[0:1], s[0:1]
	ds_read_b128 v[0:3], v180 offset:5280
	v_mul_f64 v[20:21], v[20:21], s[0:1]
	global_store_dwordx4 v[36:37], v[20:23], off
	ds_read_b128 v[20:23], v180 offset:6160
	v_mad_u64_u32 v[36:37], s[6:7], s4, v38, v[36:37]
	s_waitcnt vmcnt(1) lgkmcnt(1)
	v_mul_f64 v[32:33], v[42:43], v[2:3]
	v_fmac_f64_e32 v[32:33], v[40:41], v[0:1]
	v_mul_f64 v[0:1], v[42:43], v[0:1]
	v_fma_f64 v[0:1], v[40:41], v[2:3], -v[0:1]
	v_mul_f64 v[32:33], v[32:33], s[0:1]
	v_mul_f64 v[34:35], v[0:1], s[0:1]
	v_add_u32_e32 v37, s2, v37
	global_store_dwordx4 v[36:37], v[32:35], off
	scratch_load_dwordx4 v[32:35], off, off offset:152 ; 16-byte Folded Reload
	v_mad_u64_u32 v[36:37], s[6:7], s4, v38, v[36:37]
	scratch_load_dwordx4 v[40:43], off, off offset:168 ; 16-byte Folded Reload
	v_add_u32_e32 v37, s2, v37
	s_waitcnt vmcnt(1)
	v_mul_f64 v[0:1], v[34:35], v[18:19]
	v_mul_f64 v[2:3], v[34:35], v[16:17]
	v_fmac_f64_e32 v[0:1], v[32:33], v[16:17]
	v_fma_f64 v[2:3], v[32:33], v[18:19], -v[2:3]
	ds_read_b128 v[16:19], v180 offset:14080
	v_mul_f64 v[0:1], v[0:1], s[0:1]
	v_mul_f64 v[2:3], v[2:3], s[0:1]
	global_store_dwordx4 v[36:37], v[0:3], off
	ds_read_b128 v[0:3], v180 offset:14960
	s_waitcnt vmcnt(1) lgkmcnt(1)
	v_mul_f64 v[32:33], v[42:43], v[18:19]
	v_fmac_f64_e32 v[32:33], v[40:41], v[16:17]
	v_mul_f64 v[16:17], v[42:43], v[16:17]
	v_fma_f64 v[16:17], v[40:41], v[18:19], -v[16:17]
	v_mad_u64_u32 v[36:37], s[6:7], s4, v38, v[36:37]
	v_mul_f64 v[32:33], v[32:33], s[0:1]
	v_mul_f64 v[34:35], v[16:17], s[0:1]
	v_add_u32_e32 v37, s2, v37
	global_store_dwordx4 v[36:37], v[32:35], off
	scratch_load_dwordx4 v[32:35], off, off offset:184 ; 16-byte Folded Reload
	v_mad_u64_u32 v[36:37], s[6:7], s4, v38, v[36:37]
	scratch_load_dwordx4 v[40:43], off, off offset:200 ; 16-byte Folded Reload
	v_add_u32_e32 v37, s2, v37
	s_waitcnt vmcnt(1)
	v_mul_f64 v[16:17], v[34:35], v[26:27]
	v_mul_f64 v[18:19], v[34:35], v[24:25]
	v_fmac_f64_e32 v[16:17], v[32:33], v[24:25]
	v_fma_f64 v[18:19], v[32:33], v[26:27], -v[18:19]
	ds_read_b128 v[24:27], v180 offset:22880
	v_mul_f64 v[16:17], v[16:17], s[0:1]
	v_mul_f64 v[18:19], v[18:19], s[0:1]
	global_store_dwordx4 v[36:37], v[16:19], off
	ds_read_b128 v[16:19], v180 offset:23760
	s_waitcnt vmcnt(1) lgkmcnt(1)
	v_mul_f64 v[32:33], v[42:43], v[26:27]
	v_fmac_f64_e32 v[32:33], v[40:41], v[24:25]
	v_mul_f64 v[24:25], v[42:43], v[24:25]
	v_fma_f64 v[24:25], v[40:41], v[26:27], -v[24:25]
	v_mad_u64_u32 v[36:37], s[6:7], s4, v38, v[36:37]
	;; [unrolled: 24-line block ×3, first 2 shown]
	v_mul_f64 v[32:33], v[32:33], s[0:1]
	v_mul_f64 v[34:35], v[28:29], s[0:1]
	v_add_u32_e32 v37, s3, v37
	global_store_dwordx4 v[36:37], v[32:35], off
	scratch_load_dwordx4 v[30:33], off, off offset:460 ; 16-byte Folded Reload
	v_mad_u64_u32 v[36:37], s[6:7], s4, v38, v[36:37]
	scratch_load_dwordx4 v[40:43], off, off offset:396 ; 16-byte Folded Reload
	v_add_u32_e32 v37, s2, v37
	s_waitcnt vmcnt(1)
	v_mul_f64 v[28:29], v[32:33], v[22:23]
	v_fmac_f64_e32 v[28:29], v[30:31], v[20:21]
	v_mul_f64 v[20:21], v[32:33], v[20:21]
	v_fma_f64 v[20:21], v[30:31], v[22:23], -v[20:21]
	v_mul_f64 v[30:31], v[20:21], s[0:1]
	ds_read_b128 v[20:23], v180 offset:10560
	v_mul_f64 v[28:29], v[28:29], s[0:1]
	global_store_dwordx4 v[36:37], v[28:31], off
	ds_read_b128 v[28:31], v180 offset:11440
	v_mad_u64_u32 v[36:37], s[6:7], s4, v38, v[36:37]
	s_waitcnt vmcnt(1) lgkmcnt(1)
	v_mul_f64 v[32:33], v[42:43], v[22:23]
	v_fmac_f64_e32 v[32:33], v[40:41], v[20:21]
	v_mul_f64 v[20:21], v[42:43], v[20:21]
	v_fma_f64 v[20:21], v[40:41], v[22:23], -v[20:21]
	v_mul_f64 v[32:33], v[32:33], s[0:1]
	v_mul_f64 v[34:35], v[20:21], s[0:1]
	v_add_u32_e32 v37, s2, v37
	global_store_dwordx4 v[36:37], v[32:35], off
	scratch_load_dwordx4 v[32:35], off, off offset:412 ; 16-byte Folded Reload
	v_mad_u64_u32 v[36:37], s[6:7], s4, v38, v[36:37]
	scratch_load_dwordx4 v[40:43], off, off offset:348 ; 16-byte Folded Reload
	v_add_u32_e32 v37, s2, v37
	s_waitcnt vmcnt(1)
	v_mul_f64 v[20:21], v[34:35], v[2:3]
	v_fmac_f64_e32 v[20:21], v[32:33], v[0:1]
	v_mul_f64 v[0:1], v[34:35], v[0:1]
	v_fma_f64 v[0:1], v[32:33], v[2:3], -v[0:1]
	v_mul_f64 v[22:23], v[0:1], s[0:1]
	ds_read_b128 v[0:3], v180 offset:19360
	v_mul_f64 v[20:21], v[20:21], s[0:1]
	global_store_dwordx4 v[36:37], v[20:23], off
	ds_read_b128 v[20:23], v180 offset:20240
	v_mad_u64_u32 v[36:37], s[6:7], s4, v38, v[36:37]
	s_waitcnt vmcnt(1) lgkmcnt(1)
	v_mul_f64 v[32:33], v[42:43], v[2:3]
	v_fmac_f64_e32 v[32:33], v[40:41], v[0:1]
	v_mul_f64 v[0:1], v[42:43], v[0:1]
	v_fma_f64 v[0:1], v[40:41], v[2:3], -v[0:1]
	v_mul_f64 v[32:33], v[32:33], s[0:1]
	v_mul_f64 v[34:35], v[0:1], s[0:1]
	v_add_u32_e32 v37, s2, v37
	global_store_dwordx4 v[36:37], v[32:35], off
	scratch_load_dwordx4 v[32:35], off, off offset:364 ; 16-byte Folded Reload
	v_mad_u64_u32 v[36:37], s[6:7], s4, v38, v[36:37]
	scratch_load_dwordx4 v[40:43], off, off offset:300 ; 16-byte Folded Reload
	v_add_u32_e32 v37, s2, v37
	s_waitcnt vmcnt(1)
	v_mul_f64 v[0:1], v[34:35], v[18:19]
	v_mul_f64 v[2:3], v[34:35], v[16:17]
	v_fmac_f64_e32 v[0:1], v[32:33], v[16:17]
	v_fma_f64 v[2:3], v[32:33], v[18:19], -v[2:3]
	ds_read_b128 v[16:19], v180 offset:28160
	v_mul_f64 v[0:1], v[0:1], s[0:1]
	v_mul_f64 v[2:3], v[2:3], s[0:1]
	global_store_dwordx4 v[36:37], v[0:3], off
	ds_read_b128 v[0:3], v180 offset:29040
	s_waitcnt vmcnt(1) lgkmcnt(1)
	v_mul_f64 v[32:33], v[42:43], v[18:19]
	v_fmac_f64_e32 v[32:33], v[40:41], v[16:17]
	v_mul_f64 v[16:17], v[42:43], v[16:17]
	v_fma_f64 v[16:17], v[40:41], v[18:19], -v[16:17]
	v_mad_u64_u32 v[36:37], s[6:7], s4, v38, v[36:37]
	v_mul_f64 v[32:33], v[32:33], s[0:1]
	v_mul_f64 v[34:35], v[16:17], s[0:1]
	v_add_u32_e32 v37, s2, v37
	global_store_dwordx4 v[36:37], v[32:35], off
	scratch_load_dwordx4 v[32:35], off, off offset:380 ; 16-byte Folded Reload
	v_mad_u64_u32 v[36:37], s[6:7], s4, v39, v[36:37]
	scratch_load_dwordx4 v[40:43], off, off offset:316 ; 16-byte Folded Reload
	v_add_u32_e32 v37, s3, v37
	s_waitcnt vmcnt(1)
	v_mul_f64 v[16:17], v[34:35], v[26:27]
	v_mul_f64 v[18:19], v[34:35], v[24:25]
	v_fmac_f64_e32 v[16:17], v[32:33], v[24:25]
	v_fma_f64 v[18:19], v[32:33], v[26:27], -v[18:19]
	ds_read_b128 v[24:27], v180 offset:7040
	v_mul_f64 v[16:17], v[16:17], s[0:1]
	v_mul_f64 v[18:19], v[18:19], s[0:1]
	global_store_dwordx4 v[36:37], v[16:19], off
	ds_read_b128 v[16:19], v180 offset:7920
	s_waitcnt vmcnt(1) lgkmcnt(1)
	v_mul_f64 v[32:33], v[42:43], v[26:27]
	v_fmac_f64_e32 v[32:33], v[40:41], v[24:25]
	v_mul_f64 v[24:25], v[42:43], v[24:25]
	v_fma_f64 v[24:25], v[40:41], v[26:27], -v[24:25]
	v_mad_u64_u32 v[36:37], s[6:7], s4, v38, v[36:37]
	;; [unrolled: 24-line block ×3, first 2 shown]
	v_mul_f64 v[32:33], v[32:33], s[0:1]
	v_mul_f64 v[34:35], v[28:29], s[0:1]
	v_add_u32_e32 v37, s2, v37
	global_store_dwordx4 v[36:37], v[32:35], off
	scratch_load_dwordx4 v[30:33], off, off offset:284 ; 16-byte Folded Reload
	v_mad_u64_u32 v[36:37], s[6:7], s4, v38, v[36:37]
	scratch_load_dwordx4 v[40:43], off, off offset:216 ; 16-byte Folded Reload
	v_add_u32_e32 v37, s2, v37
	s_waitcnt vmcnt(1)
	v_mul_f64 v[28:29], v[32:33], v[22:23]
	v_fmac_f64_e32 v[28:29], v[30:31], v[20:21]
	v_mul_f64 v[20:21], v[32:33], v[20:21]
	v_fma_f64 v[20:21], v[30:31], v[22:23], -v[20:21]
	v_mul_f64 v[30:31], v[20:21], s[0:1]
	ds_read_b128 v[20:23], v180 offset:24640
	v_mul_f64 v[28:29], v[28:29], s[0:1]
	global_store_dwordx4 v[36:37], v[28:31], off
	ds_read_b128 v[28:31], v180 offset:25520
	v_mad_u64_u32 v[36:37], s[6:7], s4, v38, v[36:37]
	s_waitcnt vmcnt(1) lgkmcnt(1)
	v_mul_f64 v[32:33], v[42:43], v[22:23]
	v_fmac_f64_e32 v[32:33], v[40:41], v[20:21]
	v_mul_f64 v[20:21], v[42:43], v[20:21]
	v_fma_f64 v[20:21], v[40:41], v[22:23], -v[20:21]
	v_mul_f64 v[32:33], v[32:33], s[0:1]
	v_mul_f64 v[34:35], v[20:21], s[0:1]
	v_add_u32_e32 v37, s2, v37
	global_store_dwordx4 v[36:37], v[32:35], off
	scratch_load_dwordx4 v[32:35], off, off offset:236 ; 16-byte Folded Reload
	s_waitcnt vmcnt(0)
	v_mul_f64 v[20:21], v[34:35], v[2:3]
	v_fmac_f64_e32 v[20:21], v[32:33], v[0:1]
	v_mul_f64 v[0:1], v[34:35], v[0:1]
	v_fma_f64 v[0:1], v[32:33], v[2:3], -v[0:1]
	v_mad_u64_u32 v[32:33], s[6:7], s4, v38, v[36:37]
	v_mul_f64 v[20:21], v[20:21], s[0:1]
	v_mul_f64 v[22:23], v[0:1], s[0:1]
	v_add_u32_e32 v33, s2, v33
	global_store_dwordx4 v[32:33], v[20:23], off
	scratch_load_dwordx4 v[20:23], off, off offset:252 ; 16-byte Folded Reload
	s_waitcnt vmcnt(0)
	v_mul_f64 v[0:1], v[22:23], v[10:11]
	v_mul_f64 v[2:3], v[22:23], v[8:9]
	v_fmac_f64_e32 v[0:1], v[20:21], v[8:9]
	v_fma_f64 v[2:3], v[20:21], v[10:11], -v[2:3]
	scratch_load_dwordx4 v[20:23], off, off offset:484 ; 16-byte Folded Reload
	v_mad_u64_u32 v[8:9], s[6:7], s4, v39, v[32:33]
	v_mul_f64 v[0:1], v[0:1], s[0:1]
	v_mul_f64 v[2:3], v[2:3], s[0:1]
	v_add_u32_e32 v9, s3, v9
	global_store_dwordx4 v[8:9], v[0:3], off
	v_mad_u64_u32 v[8:9], s[6:7], s4, v38, v[8:9]
	v_add_u32_e32 v9, s2, v9
	s_waitcnt vmcnt(1)
	v_mul_f64 v[0:1], v[22:23], v[18:19]
	v_mul_f64 v[2:3], v[22:23], v[16:17]
	v_fmac_f64_e32 v[0:1], v[20:21], v[16:17]
	v_fma_f64 v[2:3], v[20:21], v[18:19], -v[2:3]
	scratch_load_dwordx4 v[16:19], off, off offset:500 ; 16-byte Folded Reload
	v_mul_f64 v[0:1], v[0:1], s[0:1]
	v_mul_f64 v[2:3], v[2:3], s[0:1]
	global_store_dwordx4 v[8:9], v[0:3], off
	s_waitcnt vmcnt(1)
	s_nop 0
	v_mul_f64 v[0:1], v[18:19], v[6:7]
	v_mul_f64 v[2:3], v[18:19], v[4:5]
	v_fmac_f64_e32 v[0:1], v[16:17], v[4:5]
	v_fma_f64 v[2:3], v[16:17], v[6:7], -v[2:3]
	v_mad_u64_u32 v[4:5], s[6:7], s4, v38, v[8:9]
	scratch_load_dwordx4 v[6:9], off, off offset:516 ; 16-byte Folded Reload
	v_mul_f64 v[0:1], v[0:1], s[0:1]
	v_mul_f64 v[2:3], v[2:3], s[0:1]
	v_add_u32_e32 v5, s2, v5
	global_store_dwordx4 v[4:5], v[0:3], off
	v_mad_u64_u32 v[4:5], s[6:7], s4, v38, v[4:5]
	v_add_u32_e32 v5, s2, v5
	s_waitcnt vmcnt(1)
	v_mul_f64 v[0:1], v[8:9], v[26:27]
	v_mul_f64 v[2:3], v[8:9], v[24:25]
	v_fmac_f64_e32 v[0:1], v[6:7], v[24:25]
	v_fma_f64 v[2:3], v[6:7], v[26:27], -v[2:3]
	scratch_load_dwordx4 v[6:9], off, off offset:532 ; 16-byte Folded Reload
	v_mul_f64 v[0:1], v[0:1], s[0:1]
	v_mul_f64 v[2:3], v[2:3], s[0:1]
	global_store_dwordx4 v[4:5], v[0:3], off
	s_waitcnt vmcnt(1)
	s_nop 0
	v_mul_f64 v[0:1], v[8:9], v[14:15]
	v_mul_f64 v[2:3], v[8:9], v[12:13]
	v_fmac_f64_e32 v[0:1], v[6:7], v[12:13]
	v_fma_f64 v[2:3], v[6:7], v[14:15], -v[2:3]
	v_mad_u64_u32 v[8:9], s[6:7], s4, v38, v[4:5]
	scratch_load_dwordx4 v[4:7], off, off offset:548 ; 16-byte Folded Reload
	scratch_load_dwordx4 v[10:13], off, off offset:564 ; 16-byte Folded Reload
	v_mul_f64 v[0:1], v[0:1], s[0:1]
	v_mul_f64 v[2:3], v[2:3], s[0:1]
	v_add_u32_e32 v9, s2, v9
	global_store_dwordx4 v[8:9], v[0:3], off
	v_mad_u64_u32 v[8:9], s[6:7], s4, v38, v[8:9]
	v_add_u32_e32 v9, s2, v9
	s_waitcnt vmcnt(2) lgkmcnt(0)
	v_mul_f64 v[0:1], v[6:7], v[30:31]
	v_mul_f64 v[2:3], v[6:7], v[28:29]
	v_fmac_f64_e32 v[0:1], v[4:5], v[28:29]
	v_fma_f64 v[2:3], v[4:5], v[30:31], -v[2:3]
	ds_read_b128 v[4:7], v180 offset:29920
	v_mul_f64 v[0:1], v[0:1], s[0:1]
	v_mul_f64 v[2:3], v[2:3], s[0:1]
	global_store_dwordx4 v[8:9], v[0:3], off
	s_waitcnt vmcnt(2) lgkmcnt(0)
	s_nop 0
	v_mul_f64 v[0:1], v[12:13], v[6:7]
	v_mul_f64 v[2:3], v[12:13], v[4:5]
	v_fmac_f64_e32 v[0:1], v[10:11], v[4:5]
	v_fma_f64 v[2:3], v[10:11], v[6:7], -v[2:3]
	v_mul_f64 v[0:1], v[0:1], s[0:1]
	v_mul_f64 v[2:3], v[2:3], s[0:1]
	v_mad_u64_u32 v[4:5], s[0:1], s4, v38, v[8:9]
	v_add_u32_e32 v5, s2, v5
	global_store_dwordx4 v[4:5], v[0:3], off
.LBB0_10:
	s_endpgm
	.section	.rodata,"a",@progbits
	.p2align	6, 0x0
	.amdhsa_kernel bluestein_single_fwd_len1925_dim1_dp_op_CI_CI
		.amdhsa_group_segment_fixed_size 30800
		.amdhsa_private_segment_fixed_size 1044
		.amdhsa_kernarg_size 104
		.amdhsa_user_sgpr_count 2
		.amdhsa_user_sgpr_dispatch_ptr 0
		.amdhsa_user_sgpr_queue_ptr 0
		.amdhsa_user_sgpr_kernarg_segment_ptr 1
		.amdhsa_user_sgpr_dispatch_id 0
		.amdhsa_user_sgpr_kernarg_preload_length 0
		.amdhsa_user_sgpr_kernarg_preload_offset 0
		.amdhsa_user_sgpr_private_segment_size 0
		.amdhsa_uses_dynamic_stack 0
		.amdhsa_enable_private_segment 1
		.amdhsa_system_sgpr_workgroup_id_x 1
		.amdhsa_system_sgpr_workgroup_id_y 0
		.amdhsa_system_sgpr_workgroup_id_z 0
		.amdhsa_system_sgpr_workgroup_info 0
		.amdhsa_system_vgpr_workitem_id 0
		.amdhsa_next_free_vgpr 512
		.amdhsa_next_free_sgpr 40
		.amdhsa_accum_offset 256
		.amdhsa_reserve_vcc 1
		.amdhsa_float_round_mode_32 0
		.amdhsa_float_round_mode_16_64 0
		.amdhsa_float_denorm_mode_32 3
		.amdhsa_float_denorm_mode_16_64 3
		.amdhsa_dx10_clamp 1
		.amdhsa_ieee_mode 1
		.amdhsa_fp16_overflow 0
		.amdhsa_tg_split 0
		.amdhsa_exception_fp_ieee_invalid_op 0
		.amdhsa_exception_fp_denorm_src 0
		.amdhsa_exception_fp_ieee_div_zero 0
		.amdhsa_exception_fp_ieee_overflow 0
		.amdhsa_exception_fp_ieee_underflow 0
		.amdhsa_exception_fp_ieee_inexact 0
		.amdhsa_exception_int_div_zero 0
	.end_amdhsa_kernel
	.text
.Lfunc_end0:
	.size	bluestein_single_fwd_len1925_dim1_dp_op_CI_CI, .Lfunc_end0-bluestein_single_fwd_len1925_dim1_dp_op_CI_CI
                                        ; -- End function
	.section	.AMDGPU.csdata,"",@progbits
; Kernel info:
; codeLenInByte = 61328
; NumSgprs: 46
; NumVgprs: 256
; NumAgprs: 256
; TotalNumVgprs: 512
; ScratchSize: 1044
; MemoryBound: 0
; FloatMode: 240
; IeeeMode: 1
; LDSByteSize: 30800 bytes/workgroup (compile time only)
; SGPRBlocks: 5
; VGPRBlocks: 63
; NumSGPRsForWavesPerEU: 46
; NumVGPRsForWavesPerEU: 512
; AccumOffset: 256
; Occupancy: 1
; WaveLimiterHint : 1
; COMPUTE_PGM_RSRC2:SCRATCH_EN: 1
; COMPUTE_PGM_RSRC2:USER_SGPR: 2
; COMPUTE_PGM_RSRC2:TRAP_HANDLER: 0
; COMPUTE_PGM_RSRC2:TGID_X_EN: 1
; COMPUTE_PGM_RSRC2:TGID_Y_EN: 0
; COMPUTE_PGM_RSRC2:TGID_Z_EN: 0
; COMPUTE_PGM_RSRC2:TIDIG_COMP_CNT: 0
; COMPUTE_PGM_RSRC3_GFX90A:ACCUM_OFFSET: 63
; COMPUTE_PGM_RSRC3_GFX90A:TG_SPLIT: 0
	.text
	.p2alignl 6, 3212836864
	.fill 256, 4, 3212836864
	.type	__hip_cuid_3c0aa2beedcdcc11,@object ; @__hip_cuid_3c0aa2beedcdcc11
	.section	.bss,"aw",@nobits
	.globl	__hip_cuid_3c0aa2beedcdcc11
__hip_cuid_3c0aa2beedcdcc11:
	.byte	0                               ; 0x0
	.size	__hip_cuid_3c0aa2beedcdcc11, 1

	.ident	"AMD clang version 19.0.0git (https://github.com/RadeonOpenCompute/llvm-project roc-6.4.0 25133 c7fe45cf4b819c5991fe208aaa96edf142730f1d)"
	.section	".note.GNU-stack","",@progbits
	.addrsig
	.addrsig_sym __hip_cuid_3c0aa2beedcdcc11
	.amdgpu_metadata
---
amdhsa.kernels:
  - .agpr_count:     256
    .args:
      - .actual_access:  read_only
        .address_space:  global
        .offset:         0
        .size:           8
        .value_kind:     global_buffer
      - .actual_access:  read_only
        .address_space:  global
        .offset:         8
        .size:           8
        .value_kind:     global_buffer
      - .actual_access:  read_only
        .address_space:  global
        .offset:         16
        .size:           8
        .value_kind:     global_buffer
      - .actual_access:  read_only
        .address_space:  global
        .offset:         24
        .size:           8
        .value_kind:     global_buffer
      - .actual_access:  read_only
        .address_space:  global
        .offset:         32
        .size:           8
        .value_kind:     global_buffer
      - .offset:         40
        .size:           8
        .value_kind:     by_value
      - .address_space:  global
        .offset:         48
        .size:           8
        .value_kind:     global_buffer
      - .address_space:  global
        .offset:         56
        .size:           8
        .value_kind:     global_buffer
      - .address_space:  global
        .offset:         64
        .size:           8
        .value_kind:     global_buffer
      - .address_space:  global
        .offset:         72
        .size:           8
        .value_kind:     global_buffer
      - .offset:         80
        .size:           4
        .value_kind:     by_value
      - .address_space:  global
        .offset:         88
        .size:           8
        .value_kind:     global_buffer
      - .address_space:  global
        .offset:         96
        .size:           8
        .value_kind:     global_buffer
    .group_segment_fixed_size: 30800
    .kernarg_segment_align: 8
    .kernarg_segment_size: 104
    .language:       OpenCL C
    .language_version:
      - 2
      - 0
    .max_flat_workgroup_size: 55
    .name:           bluestein_single_fwd_len1925_dim1_dp_op_CI_CI
    .private_segment_fixed_size: 1044
    .sgpr_count:     46
    .sgpr_spill_count: 0
    .symbol:         bluestein_single_fwd_len1925_dim1_dp_op_CI_CI.kd
    .uniform_work_group_size: 1
    .uses_dynamic_stack: false
    .vgpr_count:     512
    .vgpr_spill_count: 260
    .wavefront_size: 64
amdhsa.target:   amdgcn-amd-amdhsa--gfx950
amdhsa.version:
  - 1
  - 2
...

	.end_amdgpu_metadata
